;; amdgpu-corpus repo=ROCm/rocFFT kind=compiled arch=gfx950 opt=O3
	.text
	.amdgcn_target "amdgcn-amd-amdhsa--gfx950"
	.amdhsa_code_object_version 6
	.protected	bluestein_single_fwd_len84_dim1_half_op_CI_CI ; -- Begin function bluestein_single_fwd_len84_dim1_half_op_CI_CI
	.globl	bluestein_single_fwd_len84_dim1_half_op_CI_CI
	.p2align	8
	.type	bluestein_single_fwd_len84_dim1_half_op_CI_CI,@function
bluestein_single_fwd_len84_dim1_half_op_CI_CI: ; @bluestein_single_fwd_len84_dim1_half_op_CI_CI
; %bb.0:
	s_load_dwordx4 s[16:19], s[0:1], 0x28
	v_mul_u32_u24_e32 v1, 0x1556, v0
	v_lshrrev_b32_e32 v2, 16, v1
	v_mad_u64_u32 v[10:11], s[2:3], s2, 10, v[2:3]
	v_mov_b32_e32 v13, 0
	v_mov_b32_e32 v11, v13
	s_waitcnt lgkmcnt(0)
	v_cmp_gt_u64_e32 vcc, s[16:17], v[10:11]
	s_and_saveexec_b64 s[2:3], vcc
	s_cbranch_execz .LBB0_18
; %bb.1:
	s_load_dwordx4 s[4:7], s[0:1], 0x18
	s_load_dwordx4 s[8:11], s[0:1], 0x0
	v_mul_lo_u16_e32 v1, 12, v2
	v_sub_u16_e32 v8, v0, v1
	v_mov_b32_e32 v4, s18
	s_waitcnt lgkmcnt(0)
	s_load_dwordx4 s[12:15], s[4:5], 0x0
	v_mov_b32_e32 v5, s19
	v_or_b32_e32 v29, 48, v8
	v_lshlrev_b32_e32 v12, 2, v8
	global_load_dword v35, v12, s[8:9]
	s_waitcnt lgkmcnt(0)
	v_mad_u64_u32 v[0:1], s[2:3], s14, v10, 0
	v_mov_b32_e32 v2, v1
	v_mad_u64_u32 v[2:3], s[2:3], s15, v10, v[2:3]
	v_mov_b32_e32 v1, v2
	;; [unrolled: 2-line block ×3, first 2 shown]
	v_mad_u64_u32 v[6:7], s[2:3], s13, v8, v[6:7]
	v_lshl_add_u64 v[0:1], v[0:1], 2, v[4:5]
	v_mad_u64_u32 v[4:5], s[2:3], s12, v29, 0
	v_mov_b32_e32 v3, v6
	v_mov_b32_e32 v6, v5
	v_mad_u64_u32 v[6:7], s[2:3], s13, v29, v[6:7]
	v_mov_b32_e32 v5, v6
	v_lshl_add_u64 v[2:3], v[2:3], 2, v[0:1]
	v_lshl_add_u64 v[0:1], v[4:5], 2, v[0:1]
	global_load_dword v6, v[2:3], off
	global_load_dword v4, v[0:1], off
	global_load_dword v30, v12, s[8:9] offset:192
	v_mad_u64_u32 v[0:1], s[2:3], s12, 48, v[2:3]
	s_mul_i32 s4, s13, 48
	v_add_u32_e32 v1, s4, v1
	global_load_dword v2, v[0:1], off
	global_load_dword v34, v12, s[8:9] offset:48
	v_mad_u64_u32 v[0:1], s[2:3], s12, 48, v[0:1]
	v_add_u32_e32 v1, s4, v1
	global_load_dword v3, v[0:1], off
	global_load_dword v33, v12, s[8:9] offset:96
	global_load_dword v32, v12, s[8:9] offset:144
	v_mad_u64_u32 v[0:1], s[2:3], s12, 48, v[0:1]
	v_add_u32_e32 v1, s4, v1
	v_mov_b32_e32 v7, 0x60
	global_load_dword v5, v[0:1], off
	v_mad_u64_u32 v[0:1], s[2:3], s12, v7, v[0:1]
	s_mul_i32 s2, s13, 0x60
	s_nop 0
	v_add_u32_e32 v1, s2, v1
	global_load_dword v7, v[0:1], off
	global_load_dword v28, v12, s[8:9] offset:240
	v_mad_u64_u32 v[0:1], s[2:3], s12, 48, v[0:1]
	v_add_u32_e32 v1, s4, v1
	global_load_dword v9, v[0:1], off
	global_load_dword v11, v12, s[8:9] offset:288
	s_mov_b32 s2, 0xcccccccd
	v_mul_hi_u32 v0, v10, s2
	v_lshrrev_b32_e32 v0, 3, v0
	v_mul_lo_u32 v0, v0, 10
	v_sub_u32_e32 v0, v10, v0
	v_mul_u32_u24_e32 v0, 0x54, v0
	v_lshlrev_b32_e32 v36, 2, v0
	v_add_u32_e32 v31, v12, v36
	s_load_dwordx4 s[4:7], s[6:7], 0x0
	s_mov_b32 s14, 0xbcab
	s_movk_i32 s12, 0x3574
	s_movk_i32 s13, 0x3b00
	s_load_dwordx2 s[2:3], s[0:1], 0x38
	s_movk_i32 s0, 0x3a52
	s_movk_i32 s1, 0x39e0
	v_cmp_gt_u16_e32 vcc, 6, v8
	s_waitcnt vmcnt(12)
	v_lshrrev_b32_e32 v0, 16, v6
	v_mul_f16_sdwa v1, v35, v6 dst_sel:DWORD dst_unused:UNUSED_PAD src0_sel:WORD_1 src1_sel:DWORD
	s_waitcnt vmcnt(11)
	v_lshrrev_b32_e32 v14, 16, v4
	s_waitcnt vmcnt(10)
	v_mul_f16_sdwa v15, v30, v4 dst_sel:DWORD dst_unused:UNUSED_PAD src0_sel:WORD_1 src1_sel:DWORD
	v_mul_f16_sdwa v16, v35, v0 dst_sel:DWORD dst_unused:UNUSED_PAD src0_sel:WORD_1 src1_sel:DWORD
	v_fma_f16 v0, v35, v0, -v1
	v_mul_f16_sdwa v1, v30, v14 dst_sel:DWORD dst_unused:UNUSED_PAD src0_sel:WORD_1 src1_sel:DWORD
	v_fma_f16 v14, v30, v14, -v15
	s_waitcnt vmcnt(9)
	v_lshrrev_b32_e32 v15, 16, v2
	v_fma_f16 v6, v35, v6, v16
	s_waitcnt vmcnt(8)
	v_mul_f16_sdwa v16, v34, v2 dst_sel:DWORD dst_unused:UNUSED_PAD src0_sel:WORD_1 src1_sel:DWORD
	v_fma_f16 v1, v30, v4, v1
	v_mul_f16_sdwa v4, v34, v15 dst_sel:DWORD dst_unused:UNUSED_PAD src0_sel:WORD_1 src1_sel:DWORD
	v_pack_b32_f16 v0, v6, v0
	v_fma_f16 v6, v34, v15, -v16
	v_fma_f16 v2, v34, v2, v4
	s_waitcnt vmcnt(7)
	v_lshrrev_b32_e32 v4, 16, v3
	v_pack_b32_f16 v1, v1, v14
	s_waitcnt vmcnt(6)
	v_mul_f16_sdwa v14, v33, v3 dst_sel:DWORD dst_unused:UNUSED_PAD src0_sel:WORD_1 src1_sel:DWORD
	v_pack_b32_f16 v2, v2, v6
	v_mul_f16_sdwa v6, v33, v4 dst_sel:DWORD dst_unused:UNUSED_PAD src0_sel:WORD_1 src1_sel:DWORD
	v_fma_f16 v4, v33, v4, -v14
	ds_write2_b32 v31, v0, v2 offset1:12
	v_fma_f16 v0, v33, v3, v6
	s_waitcnt vmcnt(4)
	v_lshrrev_b32_e32 v2, 16, v5
	v_mul_f16_sdwa v3, v32, v5 dst_sel:DWORD dst_unused:UNUSED_PAD src0_sel:WORD_1 src1_sel:DWORD
	v_pack_b32_f16 v0, v0, v4
	v_mul_f16_sdwa v4, v32, v2 dst_sel:DWORD dst_unused:UNUSED_PAD src0_sel:WORD_1 src1_sel:DWORD
	v_fma_f16 v2, v32, v2, -v3
	v_fma_f16 v3, v32, v5, v4
	s_waitcnt vmcnt(3)
	v_lshrrev_b32_e32 v4, 16, v7
	s_waitcnt vmcnt(2)
	v_mul_f16_sdwa v5, v28, v7 dst_sel:DWORD dst_unused:UNUSED_PAD src0_sel:WORD_1 src1_sel:DWORD
	v_pack_b32_f16 v2, v3, v2
	v_mul_f16_sdwa v3, v28, v4 dst_sel:DWORD dst_unused:UNUSED_PAD src0_sel:WORD_1 src1_sel:DWORD
	ds_write2_b32 v31, v0, v2 offset0:24 offset1:36
	v_fma_f16 v0, v28, v7, v3
	v_fma_f16 v2, v28, v4, -v5
	v_pack_b32_f16 v0, v0, v2
	ds_write2_b32 v31, v1, v0 offset0:48 offset1:60
	s_waitcnt vmcnt(1)
	v_lshrrev_b32_e32 v0, 16, v9
	s_waitcnt vmcnt(0)
	v_mul_f16_sdwa v1, v11, v0 dst_sel:DWORD dst_unused:UNUSED_PAD src0_sel:WORD_1 src1_sel:DWORD
	v_mul_f16_sdwa v2, v11, v9 dst_sel:DWORD dst_unused:UNUSED_PAD src0_sel:WORD_1 src1_sel:DWORD
	v_fma_f16 v1, v11, v9, v1
	v_fma_f16 v0, v11, v0, -v2
	v_pack_b32_f16 v0, v1, v0
	ds_write_b32 v31, v0 offset:288
	s_waitcnt lgkmcnt(0)
	s_barrier
	ds_read2_b32 v[0:1], v31 offset1:12
	ds_read2_b32 v[2:3], v31 offset0:24 offset1:36
	ds_read_b32 v6, v31 offset:288
	ds_read2_b32 v[4:5], v31 offset0:48 offset1:60
	v_mul_lo_u16_e32 v7, 7, v8
	v_lshl_add_u32 v37, v7, 2, v36
	s_waitcnt lgkmcnt(0)
	v_pk_add_f16 v7, v1, v6
	v_pk_add_f16 v9, v2, v5
	;; [unrolled: 1-line block ×4, first 2 shown]
	v_pk_add_f16 v1, v1, v6 neg_lo:[0,1] neg_hi:[0,1]
	v_pk_add_f16 v15, v14, v15
	v_pk_add_f16 v2, v2, v5 neg_lo:[0,1] neg_hi:[0,1]
	v_pk_add_f16 v0, v0, v15
	v_pk_add_f16 v3, v4, v3 neg_lo:[0,1] neg_hi:[0,1]
	v_pk_add_f16 v4, v9, v7 neg_lo:[0,1] neg_hi:[0,1]
	;; [unrolled: 1-line block ×5, first 2 shown]
	v_pk_fma_f16 v15, v15, s14, v0 op_sel_hi:[1,0,1]
	v_pk_add_f16 v9, v14, v9 neg_lo:[0,1] neg_hi:[0,1]
	s_movk_i32 s14, 0x2b26
	v_pk_add_f16 v6, v3, v2
	v_pk_mul_f16 v18, v7, s12 op_sel_hi:[1,0]
	v_pk_mul_f16 v19, v16, s13 op_sel_hi:[1,0]
	;; [unrolled: 1-line block ×3, first 2 shown]
	v_pk_add_f16 v2, v3, v2 neg_lo:[0,1] neg_hi:[0,1]
	s_mov_b32 s14, 0xb846
	v_pk_add_f16 v1, v6, v1
	v_pk_mul_f16 v6, v5, s0 op_sel_hi:[1,0]
	v_pk_mul_f16 v17, v4, s1 op_sel_hi:[1,0]
	v_pk_fma_f16 v7, v7, s12, v19 op_sel_hi:[1,0,1] neg_lo:[1,0,1] neg_hi:[1,0,1]
	s_movk_i32 s12, 0x370e
	v_pk_mul_f16 v3, v2, s14 op_sel_hi:[1,0]
	v_alignbit_b32 v14, s0, v9, 16
	v_pk_fma_f16 v2, v2, s14, v18 op_sel_hi:[1,0,1]
	v_pk_add_f16 v17, v6, v17 op_sel:[1,1] op_sel_hi:[0,0] neg_lo:[1,1] neg_hi:[1,1]
	v_pk_fma_f16 v5, v5, s0, v9 op_sel_hi:[1,0,1]
	v_pk_add_f16 v6, v14, v6 op_sel:[0,1] op_sel_hi:[1,0]
	v_pk_fma_f16 v4, v4, s1, v9 op_sel_hi:[1,0,1] neg_lo:[0,0,1] neg_hi:[0,0,1]
	v_pk_fma_f16 v9, v1, s12, v2 op_sel_hi:[1,0,1]
	v_pk_fma_f16 v3, v16, s13, v3 op_sel_hi:[1,0,1] neg_lo:[0,0,1] neg_hi:[0,0,1]
	v_pk_add_f16 v5, v5, v15
	v_pk_add_f16 v6, v6, v15 op_sel:[0,1] op_sel_hi:[1,0]
	v_alignbit_b32 v2, s0, v9, 16
	v_pk_add_f16 v17, v17, v15 op_sel:[0,1] op_sel_hi:[1,0]
	v_pk_fma_f16 v7, v1, s12, v7 op_sel_hi:[1,0,1]
	v_pk_add_f16 v4, v4, v15
	v_pk_fma_f16 v1, v1, s12, v3 op_sel_hi:[1,0,1]
	v_pk_add_f16 v3, v5, v2
	v_pk_add_f16 v14, v6, v9 neg_lo:[0,1] neg_hi:[0,1]
	v_pk_add_f16 v19, v17, v7
	v_pk_add_f16 v7, v17, v7 neg_lo:[0,1] neg_hi:[0,1]
	v_pk_add_f16 v15, v4, v1 op_sel:[0,1] op_sel_hi:[1,0] neg_lo:[0,1] neg_hi:[0,1]
	v_pk_add_f16 v1, v4, v1 op_sel:[0,1] op_sel_hi:[1,0]
	s_mov_b32 s0, 0xffff
	v_pack_b32_f16 v3, v3, v14
	s_barrier
	v_alignbit_b32 v17, v7, v19, 16
	v_bfi_b32 v4, s0, v15, v1
	v_pk_add_f16 v2, v5, v2 neg_lo:[0,1] neg_hi:[0,1]
	v_pk_add_f16 v16, v9, v6
	ds_write2_b32 v37, v0, v3 offset1:1
	ds_write2_b32 v37, v17, v4 offset0:2 offset1:3
	v_bfi_b32 v0, s0, v1, v15
	v_alignbit_b32 v1, v19, v7, 16
	ds_write2_b32 v37, v0, v1 offset0:4 offset1:5
	v_pack_b32_f16 v0, v2, v16
	ds_write_b32 v37, v0 offset:24
	s_waitcnt lgkmcnt(0)
	s_barrier
	ds_read2_b32 v[6:7], v31 offset1:12
	ds_read2_b32 v[4:5], v31 offset0:24 offset1:42
	ds_read2_b32 v[14:15], v31 offset0:54 offset1:66
	v_mov_b32_e32 v9, v13
                                        ; implicit-def: $vgpr17
	s_and_saveexec_b64 s[0:1], vcc
	s_cbranch_execz .LBB0_3
; %bb.2:
	ds_read2_b32 v[2:3], v31 offset0:36 offset1:78
	s_waitcnt lgkmcnt(0)
	v_lshrrev_b32_e32 v16, 16, v2
	v_lshrrev_b32_e32 v17, 16, v3
.LBB0_3:
	s_or_b64 exec, exec, s[0:1]
	v_lshl_add_u64 v[0:1], v[8:9], 0, 12
	v_lshl_add_u64 v[18:19], v[8:9], 0, -7
	v_cmp_gt_u16_e64 s[0:1], 7, v8
	v_mov_b32_e32 v1, 37
	v_mul_lo_u16_sdwa v9, v0, v1 dst_sel:DWORD dst_unused:UNUSED_PAD src0_sel:BYTE_0 src1_sel:DWORD
	v_cndmask_b32_e64 v19, v19, 0, s[0:1]
	v_cndmask_b32_e64 v18, v18, v8, s[0:1]
	v_lshl_add_u64 v[20:21], v[18:19], 2, s[10:11]
	v_sub_u16_sdwa v19, v0, v9 dst_sel:DWORD dst_unused:UNUSED_PAD src0_sel:DWORD src1_sel:BYTE_1
	v_lshrrev_b16_e32 v19, 1, v19
	v_and_b32_e32 v19, 0x7f, v19
	v_add_u16_sdwa v9, v19, v9 dst_sel:DWORD dst_unused:UNUSED_PAD src0_sel:DWORD src1_sel:BYTE_1
	v_add_u16_e32 v24, 24, v8
	v_lshrrev_b16_e32 v9, 2, v9
	v_mul_lo_u16_sdwa v25, v24, v1 dst_sel:DWORD dst_unused:UNUSED_PAD src0_sel:BYTE_0 src1_sel:DWORD
	v_mul_lo_u16_e32 v19, 7, v9
	v_sub_u16_sdwa v26, v24, v25 dst_sel:DWORD dst_unused:UNUSED_PAD src0_sel:DWORD src1_sel:BYTE_1
	v_sub_u16_e32 v19, v0, v19
	v_mov_b32_e32 v22, 2
	v_lshrrev_b16_e32 v26, 1, v26
	v_lshlrev_b32_sdwa v23, v22, v19 dst_sel:DWORD dst_unused:UNUSED_PAD src0_sel:DWORD src1_sel:BYTE_0
	v_and_b32_e32 v26, 0x7f, v26
	global_load_dword v39, v[20:21], off
	global_load_dword v41, v23, s[10:11]
	v_add_u16_sdwa v20, v26, v25 dst_sel:DWORD dst_unused:UNUSED_PAD src0_sel:DWORD src1_sel:BYTE_1
	v_lshrrev_b16_e32 v20, 2, v20
	v_mul_lo_u16_e32 v21, 7, v20
	v_sub_u16_e32 v21, v24, v21
	v_add_u16_e32 v24, 36, v8
	v_mul_lo_u16_sdwa v1, v24, v1 dst_sel:DWORD dst_unused:UNUSED_PAD src0_sel:BYTE_0 src1_sel:DWORD
	v_sub_u16_sdwa v25, v24, v1 dst_sel:DWORD dst_unused:UNUSED_PAD src0_sel:DWORD src1_sel:BYTE_1
	v_lshrrev_b16_e32 v25, 1, v25
	v_and_b32_e32 v25, 0x7f, v25
	v_add_u16_sdwa v1, v25, v1 dst_sel:DWORD dst_unused:UNUSED_PAD src0_sel:DWORD src1_sel:BYTE_1
	v_lshrrev_b16_e32 v1, 2, v1
	v_mul_lo_u16_e32 v1, 7, v1
	v_sub_u16_e32 v38, v24, v1
	v_lshlrev_b32_sdwa v22, v22, v21 dst_sel:DWORD dst_unused:UNUSED_PAD src0_sel:DWORD src1_sel:BYTE_0
	global_load_dword v40, v22, s[10:11]
	v_and_b32_e32 v1, 0xff, v38
	v_lshlrev_b32_e32 v22, 2, v1
	global_load_dword v42, v22, s[10:11]
	v_cmp_lt_u16_e64 s[0:1], 6, v8
	v_mad_legacy_u16 v9, v9, 14, v19
	s_waitcnt lgkmcnt(1)
	v_lshrrev_b32_e32 v23, 16, v5
	v_cndmask_b32_e64 v43, 0, 14, s[0:1]
	v_add_u32_e32 v18, v18, v43
	v_and_b32_e32 v9, 0xff, v9
	v_lshl_add_u32 v44, v18, 2, v36
	v_lshl_add_u32 v45, v9, 2, v36
	v_lshrrev_b32_e32 v22, 16, v6
	s_waitcnt lgkmcnt(0)
	v_lshrrev_b32_e32 v25, 16, v14
	v_lshrrev_b32_e32 v27, 16, v15
	s_barrier
	v_lshrrev_b32_e32 v24, 16, v7
	v_lshrrev_b32_e32 v26, 16, v4
	s_waitcnt vmcnt(3)
	v_mul_f16_sdwa v9, v23, v39 dst_sel:DWORD dst_unused:UNUSED_PAD src0_sel:DWORD src1_sel:WORD_1
	v_mul_f16_sdwa v18, v5, v39 dst_sel:DWORD dst_unused:UNUSED_PAD src0_sel:DWORD src1_sel:WORD_1
	v_fma_f16 v5, v5, v39, -v9
	v_fma_f16 v9, v23, v39, v18
	v_sub_f16_e32 v5, v6, v5
	v_sub_f16_e32 v9, v22, v9
	v_fma_f16 v6, v6, 2.0, -v5
	v_fma_f16 v18, v22, 2.0, -v9
	v_pack_b32_f16 v5, v5, v9
	v_pack_b32_f16 v6, v6, v18
	ds_write2_b32 v44, v6, v5 offset1:7
	s_waitcnt vmcnt(2)
	v_mul_f16_sdwa v5, v25, v41 dst_sel:DWORD dst_unused:UNUSED_PAD src0_sel:DWORD src1_sel:WORD_1
	v_mul_f16_sdwa v6, v14, v41 dst_sel:DWORD dst_unused:UNUSED_PAD src0_sel:DWORD src1_sel:WORD_1
	v_fma_f16 v5, v14, v41, -v5
	v_fma_f16 v6, v25, v41, v6
	v_sub_f16_e32 v5, v7, v5
	s_waitcnt vmcnt(1)
	v_mul_f16_sdwa v9, v27, v40 dst_sel:DWORD dst_unused:UNUSED_PAD src0_sel:DWORD src1_sel:WORD_1
	v_mul_f16_sdwa v18, v15, v40 dst_sel:DWORD dst_unused:UNUSED_PAD src0_sel:DWORD src1_sel:WORD_1
	v_fma_f16 v9, v15, v40, -v9
	s_waitcnt vmcnt(0)
	v_mul_f16_sdwa v15, v17, v42 dst_sel:DWORD dst_unused:UNUSED_PAD src0_sel:DWORD src1_sel:WORD_1
	v_fma_f16 v14, v27, v40, v18
	v_mul_f16_sdwa v18, v3, v42 dst_sel:DWORD dst_unused:UNUSED_PAD src0_sel:DWORD src1_sel:WORD_1
	v_fma_f16 v3, v3, v42, -v15
	v_sub_f16_e32 v6, v24, v6
	v_fma_f16 v7, v7, 2.0, -v5
	v_fma_f16 v22, v24, 2.0, -v6
	v_sub_f16_e32 v15, v2, v3
	v_sub_f16_e32 v19, v26, v14
	v_pack_b32_f16 v3, v5, v6
	v_fma_f16 v14, v2, 2.0, -v15
	v_pack_b32_f16 v2, v7, v22
	v_fma_f16 v17, v17, v42, v18
	v_sub_f16_e32 v18, v4, v9
	ds_write2_b32 v45, v2, v3 offset1:7
	v_mad_legacy_u16 v2, v20, 14, v21
	v_fma_f16 v4, v4, 2.0, -v18
	v_fma_f16 v23, v26, 2.0, -v19
	v_sub_f16_e32 v48, v16, v17
	v_and_b32_e32 v2, 0xff, v2
	v_fma_f16 v9, v16, 2.0, -v48
	v_lshl_add_u32 v46, v2, 2, v36
	v_pack_b32_f16 v2, v4, v23
	v_pack_b32_f16 v3, v18, v19
	ds_write2_b32 v46, v2, v3 offset1:7
	s_and_saveexec_b64 s[0:1], vcc
	s_cbranch_execz .LBB0_5
; %bb.4:
	s_mov_b32 s12, 0x5040100
	v_lshl_add_u32 v1, v1, 2, v36
	v_perm_b32 v2, v9, v14, s12
	v_perm_b32 v3, v48, v15, s12
	ds_write2_b32 v1, v2, v3 offset0:70 offset1:77
.LBB0_5:
	s_or_b64 exec, exec, s[0:1]
	s_waitcnt lgkmcnt(0)
	s_barrier
	ds_read2_b32 v[16:17], v31 offset1:14
	ds_read2_b32 v[26:27], v31 offset0:28 offset1:42
	ds_read2_b32 v[24:25], v31 offset0:56 offset1:70
	v_cmp_gt_u16_e64 s[0:1], 2, v8
                                        ; implicit-def: $vgpr20
                                        ; implicit-def: $vgpr49
                                        ; implicit-def: $vgpr50
                                        ; implicit-def: $vgpr22
                                        ; implicit-def: $vgpr51
                                        ; implicit-def: $vgpr52
	s_and_saveexec_b64 s[12:13], s[0:1]
	s_cbranch_execz .LBB0_7
; %bb.6:
	ds_read2_b32 v[14:15], v31 offset0:12 offset1:26
	ds_read2_b32 v[20:21], v31 offset0:40 offset1:54
	;; [unrolled: 1-line block ×3, first 2 shown]
	s_waitcnt lgkmcnt(2)
	v_lshrrev_b32_e32 v9, 16, v14
	v_lshrrev_b32_e32 v48, 16, v15
	s_waitcnt lgkmcnt(1)
	v_lshrrev_b32_e32 v49, 16, v20
	v_lshrrev_b32_e32 v50, 16, v21
	;; [unrolled: 3-line block ×3, first 2 shown]
.LBB0_7:
	s_or_b64 exec, exec, s[12:13]
	v_mad_u64_u32 v[2:3], s[12:13], v8, 20, s[10:11]
	global_load_dwordx4 v[4:7], v[2:3], off offset:28
	global_load_dword v47, v[2:3], off offset:44
	v_add_u32_e32 v1, -2, v8
	v_cndmask_b32_e64 v0, v1, v0, s[0:1]
	v_mul_hi_i32_i24_e32 v1, 20, v0
	v_mul_i32_i24_e32 v0, 20, v0
	v_lshl_add_u64 v[18:19], s[10:11], 0, v[0:1]
	global_load_dwordx4 v[0:3], v[18:19], off offset:28
	global_load_dword v43, v[18:19], off offset:44
	s_waitcnt lgkmcnt(1)
	v_lshrrev_b32_e32 v54, 16, v27
	s_waitcnt lgkmcnt(0)
	v_lshrrev_b32_e32 v56, 16, v25
	v_lshl_add_u64 v[18:19], s[8:9], 0, v[12:13]
	v_lshrrev_b32_e32 v13, 16, v17
	v_lshrrev_b32_e32 v53, 16, v26
	;; [unrolled: 1-line block ×4, first 2 shown]
	s_movk_i32 s10, 0x3aee
	s_mov_b32 s11, 0xbaee
	s_waitcnt vmcnt(3)
	v_mul_f16_sdwa v58, v17, v4 dst_sel:DWORD dst_unused:UNUSED_PAD src0_sel:DWORD src1_sel:WORD_1
	v_mul_f16_sdwa v60, v26, v5 dst_sel:DWORD dst_unused:UNUSED_PAD src0_sel:DWORD src1_sel:WORD_1
	;; [unrolled: 1-line block ×5, first 2 shown]
	s_waitcnt vmcnt(2)
	v_mul_f16_sdwa v65, v56, v47 dst_sel:DWORD dst_unused:UNUSED_PAD src0_sel:DWORD src1_sel:WORD_1
	v_mul_f16_sdwa v66, v25, v47 dst_sel:DWORD dst_unused:UNUSED_PAD src0_sel:DWORD src1_sel:WORD_1
	;; [unrolled: 1-line block ×5, first 2 shown]
	v_fma_f16 v13, v13, v4, v58
	v_fma_f16 v53, v53, v5, v60
	v_fma_f16 v27, v27, v6, -v61
	v_fma_f16 v54, v54, v6, v62
	v_fma_f16 v55, v55, v7, v64
	v_fma_f16 v25, v25, v47, -v65
	v_fma_f16 v56, v56, v47, v66
	v_fma_f16 v17, v17, v4, -v57
	v_fma_f16 v26, v26, v5, -v59
	;; [unrolled: 1-line block ×3, first 2 shown]
	v_sub_f16_e32 v59, v53, v55
	v_add_f16_e32 v60, v12, v53
	v_add_f16_e32 v53, v53, v55
	;; [unrolled: 1-line block ×3, first 2 shown]
	v_sub_f16_e32 v63, v54, v56
	v_add_f16_e32 v64, v13, v54
	v_add_f16_e32 v54, v54, v56
	;; [unrolled: 1-line block ×4, first 2 shown]
	v_sub_f16_e32 v26, v26, v24
	v_add_f16_e32 v61, v17, v27
	v_sub_f16_e32 v27, v27, v25
	v_fma_f16 v12, v53, -0.5, v12
	v_fma_f16 v17, v62, -0.5, v17
	v_fma_f16 v13, v54, -0.5, v13
	v_add_f16_e32 v24, v57, v24
	v_add_f16_e32 v53, v64, v56
	v_fma_f16 v56, v26, s11, v12
	v_fma_f16 v12, v26, s10, v12
	;; [unrolled: 1-line block ×5, first 2 shown]
	v_add_f16_e32 v55, v60, v55
	v_fma_f16 v13, v27, s10, v13
	v_mul_f16_e32 v27, 0x3aee, v57
	v_mul_f16_e32 v60, -0.5, v17
	s_waitcnt vmcnt(1)
	v_mul_f16_sdwa v67, v49, v1 dst_sel:DWORD dst_unused:UNUSED_PAD src0_sel:DWORD src1_sel:WORD_1
	v_fma_f16 v27, v26, 0.5, v27
	v_fma_f16 v60, v13, s10, v60
	v_mul_f16_e32 v26, 0xbaee, v26
	v_mul_f16_e32 v13, -0.5, v13
	v_mul_f16_sdwa v68, v20, v1 dst_sel:DWORD dst_unused:UNUSED_PAD src0_sel:DWORD src1_sel:WORD_1
	v_mul_f16_sdwa v69, v50, v2 dst_sel:DWORD dst_unused:UNUSED_PAD src0_sel:DWORD src1_sel:WORD_1
	;; [unrolled: 1-line block ×4, first 2 shown]
	s_waitcnt vmcnt(0)
	v_mul_f16_sdwa v74, v23, v43 dst_sel:DWORD dst_unused:UNUSED_PAD src0_sel:DWORD src1_sel:WORD_1
	v_fma_f16 v16, v58, -0.5, v16
	v_fma_f16 v20, v20, v1, -v67
	v_fma_f16 v26, v57, 0.5, v26
	v_fma_f16 v13, v17, s11, v13
	v_mul_f16_sdwa v70, v21, v2 dst_sel:DWORD dst_unused:UNUSED_PAD src0_sel:DWORD src1_sel:WORD_1
	v_mul_f16_sdwa v73, v52, v43 dst_sel:DWORD dst_unused:UNUSED_PAD src0_sel:DWORD src1_sel:WORD_1
	v_fma_f16 v54, v21, v2, -v69
	v_fma_f16 v21, v22, v3, -v71
	v_fma_f16 v22, v51, v3, v72
	v_fma_f16 v51, v52, v43, v74
	;; [unrolled: 1-line block ×4, first 2 shown]
	v_add_f16_e32 v62, v55, v53
	v_add_f16_e32 v57, v56, v26
	;; [unrolled: 1-line block ×3, first 2 shown]
	v_sub_f16_e32 v53, v55, v53
	v_sub_f16_e32 v55, v56, v26
	;; [unrolled: 1-line block ×3, first 2 shown]
	v_add_f16_e32 v12, v14, v20
	v_add_f16_e32 v25, v61, v25
	v_fma_f16 v49, v49, v1, v68
	v_add_f16_e32 v61, v16, v60
	v_sub_f16_e32 v60, v16, v60
	v_add_f16_e32 v16, v12, v21
	v_add_f16_e32 v12, v20, v21
	v_fma_f16 v12, v12, -0.5, v14
	v_sub_f16_e32 v13, v49, v22
	v_add_f16_e32 v58, v24, v25
	v_sub_f16_e32 v64, v24, v25
	v_fma_f16 v14, v13, s10, v12
	v_fma_f16 v24, v13, s11, v12
	v_add_f16_e32 v12, v9, v49
	v_mul_f16_sdwa v65, v48, v0 dst_sel:DWORD dst_unused:UNUSED_PAD src0_sel:DWORD src1_sel:WORD_1
	v_add_f16_e32 v17, v12, v22
	v_add_f16_e32 v12, v49, v22
	v_mul_f16_sdwa v66, v15, v0 dst_sel:DWORD dst_unused:UNUSED_PAD src0_sel:DWORD src1_sel:WORD_1
	v_fma_f16 v15, v15, v0, -v65
	v_fma_f16 v9, v12, -0.5, v9
	v_sub_f16_e32 v12, v20, v21
	v_fma_f16 v23, v23, v43, -v73
	v_fma_f16 v25, v12, s11, v9
	v_fma_f16 v9, v12, s10, v9
	v_add_f16_e32 v12, v15, v54
	v_fma_f16 v50, v50, v2, v70
	v_add_f16_e32 v20, v12, v23
	v_add_f16_e32 v12, v54, v23
	v_fma_f16 v48, v48, v0, v66
	v_fma_f16 v12, v12, -0.5, v15
	v_sub_f16_e32 v13, v50, v51
	v_fma_f16 v15, v13, s10, v12
	v_fma_f16 v13, v13, s11, v12
	v_add_f16_e32 v12, v48, v50
	v_add_f16_e32 v21, v12, v51
	;; [unrolled: 1-line block ×3, first 2 shown]
	v_fma_f16 v12, v12, -0.5, v48
	v_sub_f16_e32 v22, v54, v23
	v_fma_f16 v23, v22, s11, v12
	v_fma_f16 v26, v22, s10, v12
	v_mul_f16_e32 v12, 0x3aee, v23
	v_add_f16_e32 v59, v52, v27
	v_sub_f16_e32 v52, v52, v27
	v_fma_f16 v27, v15, 0.5, v12
	v_mul_f16_e32 v15, 0xbaee, v15
	v_fma_f16 v49, v23, 0.5, v15
	v_mul_f16_e32 v15, -0.5, v26
	v_mul_f16_e32 v12, -0.5, v13
	v_fma_f16 v50, v13, s11, v15
	v_add_f16_e32 v22, v14, v27
	v_fma_f16 v48, v26, s10, v12
	v_add_f16_e32 v23, v25, v49
	v_add_f16_e32 v26, v9, v50
	v_sub_f16_e32 v14, v14, v27
	v_sub_f16_e32 v27, v25, v49
	;; [unrolled: 1-line block ×3, first 2 shown]
	v_pack_b32_f16 v9, v58, v62
	v_add_f16_e32 v12, v24, v48
	v_sub_f16_e32 v15, v24, v48
	ds_write_b32 v31, v9
	v_lshl_add_u32 v9, v8, 2, v36
	v_pack_b32_f16 v48, v59, v57
	v_pack_b32_f16 v49, v61, v63
	ds_write2_b32 v9, v48, v49 offset0:14 offset1:28
	v_pack_b32_f16 v48, v64, v53
	v_pack_b32_f16 v49, v52, v55
	v_sub_f16_e32 v13, v16, v20
	v_sub_f16_e32 v24, v17, v21
	ds_write2_b32 v9, v48, v49 offset0:42 offset1:56
	v_pack_b32_f16 v48, v60, v56
	ds_write_b32 v9, v48 offset:280
	s_and_saveexec_b64 s[10:11], s[0:1]
	s_cbranch_execz .LBB0_9
; %bb.8:
	v_add_f16_e32 v17, v17, v21
	v_add_f16_e32 v16, v16, v20
	v_pack_b32_f16 v16, v16, v17
	s_mov_b32 s12, 0x5040100
	ds_write_b32 v31, v16 offset:48
	v_perm_b32 v16, v23, v22, s12
	v_perm_b32 v17, v26, v12, s12
	ds_write2_b32 v9, v16, v17 offset0:26 offset1:40
	v_perm_b32 v16, v24, v13, s12
	v_perm_b32 v17, v27, v14, s12
	ds_write2_b32 v9, v16, v17 offset0:54 offset1:68
	v_perm_b32 v16, v25, v15, s12
	ds_write_b32 v9, v16 offset:328
.LBB0_9:
	s_or_b64 exec, exec, s[10:11]
	s_waitcnt lgkmcnt(0)
	s_barrier
	global_load_dword v48, v[18:19], off offset:336
	s_add_u32 s8, s8, 0x150
	s_addc_u32 s9, s9, 0
	v_lshlrev_b32_e32 v16, 2, v8
	global_load_dword v49, v16, s[8:9] offset:48
	global_load_dword v50, v16, s[8:9] offset:96
	;; [unrolled: 1-line block ×6, first 2 shown]
	ds_read2_b32 v[16:17], v31 offset1:12
	ds_read2_b32 v[18:19], v31 offset0:24 offset1:48
	ds_read_b32 v55, v9 offset:144
	ds_read2_b32 v[20:21], v31 offset0:60 offset1:72
	s_mov_b32 s12, 0xbcab
	s_waitcnt lgkmcnt(3)
	v_lshrrev_b32_e32 v56, 16, v16
	v_lshrrev_b32_e32 v57, 16, v17
	s_waitcnt lgkmcnt(2)
	v_lshrrev_b32_e32 v58, 16, v18
	s_waitcnt lgkmcnt(1)
	v_lshrrev_b32_e32 v59, 16, v55
	v_lshrrev_b32_e32 v60, 16, v19
	s_waitcnt lgkmcnt(0)
	v_lshrrev_b32_e32 v61, 16, v20
	v_lshrrev_b32_e32 v62, 16, v21
	s_mov_b32 s10, 0xb574
	s_mov_b32 s11, 0xbb00
	s_movk_i32 s8, 0x3a52
	s_movk_i32 s9, 0x39e0
	s_waitcnt vmcnt(6)
	v_mul_f16_sdwa v63, v56, v48 dst_sel:DWORD dst_unused:UNUSED_PAD src0_sel:DWORD src1_sel:WORD_1
	v_mul_f16_sdwa v64, v16, v48 dst_sel:DWORD dst_unused:UNUSED_PAD src0_sel:DWORD src1_sel:WORD_1
	v_fma_f16 v16, v16, v48, -v63
	v_fma_f16 v48, v56, v48, v64
	v_pack_b32_f16 v16, v16, v48
	s_waitcnt vmcnt(5)
	v_mul_f16_sdwa v48, v57, v49 dst_sel:DWORD dst_unused:UNUSED_PAD src0_sel:DWORD src1_sel:WORD_1
	v_mul_f16_sdwa v56, v17, v49 dst_sel:DWORD dst_unused:UNUSED_PAD src0_sel:DWORD src1_sel:WORD_1
	s_waitcnt vmcnt(4)
	v_mul_f16_sdwa v63, v58, v50 dst_sel:DWORD dst_unused:UNUSED_PAD src0_sel:DWORD src1_sel:WORD_1
	v_mul_f16_sdwa v64, v18, v50 dst_sel:DWORD dst_unused:UNUSED_PAD src0_sel:DWORD src1_sel:WORD_1
	;; [unrolled: 3-line block ×6, first 2 shown]
	v_fma_f16 v17, v17, v49, -v48
	v_fma_f16 v48, v57, v49, v56
	v_fma_f16 v18, v18, v50, -v63
	v_fma_f16 v49, v58, v50, v64
	;; [unrolled: 2-line block ×6, first 2 shown]
	v_pack_b32_f16 v17, v17, v48
	v_pack_b32_f16 v18, v18, v49
	;; [unrolled: 1-line block ×6, first 2 shown]
	ds_write2_b32 v31, v16, v17 offset1:12
	ds_write_b32 v9, v48 offset:144
	ds_write2_b32 v31, v18, v19 offset0:24 offset1:48
	ds_write2_b32 v31, v20, v21 offset0:60 offset1:72
	s_waitcnt lgkmcnt(0)
	s_barrier
	ds_read2_b32 v[16:17], v31 offset1:12
	ds_read2_b32 v[18:19], v31 offset0:24 offset1:48
	ds_read2_b32 v[20:21], v31 offset0:60 offset1:72
	ds_read_b32 v48, v9 offset:144
	s_waitcnt lgkmcnt(0)
	s_barrier
	v_pk_add_f16 v49, v17, v21
	v_pk_add_f16 v50, v18, v20
	;; [unrolled: 1-line block ×3, first 2 shown]
	v_pk_add_f16 v18, v18, v20 neg_lo:[0,1] neg_hi:[0,1]
	v_pk_add_f16 v20, v50, v49
	v_pk_add_f16 v17, v17, v21 neg_lo:[0,1] neg_hi:[0,1]
	v_pk_add_f16 v20, v51, v20
	;; [unrolled: 2-line block ×3, first 2 shown]
	v_pk_add_f16 v21, v50, v49 neg_lo:[0,1] neg_hi:[0,1]
	v_pk_add_f16 v52, v17, v19 neg_lo:[0,1] neg_hi:[0,1]
	v_pk_add_f16 v53, v18, v17 neg_lo:[0,1] neg_hi:[0,1]
	v_pk_fma_f16 v20, v20, s12, v16 op_sel_hi:[1,0,1]
	v_pk_add_f16 v50, v51, v50 neg_lo:[0,1] neg_hi:[0,1]
	s_movk_i32 s12, 0x2b26
	v_pk_add_f16 v48, v49, v51 neg_lo:[0,1] neg_hi:[0,1]
	v_pk_add_f16 v49, v19, v18
	v_pk_mul_f16 v55, v52, s10 op_sel_hi:[1,0]
	v_pk_mul_f16 v56, v53, s11 op_sel_hi:[1,0]
	;; [unrolled: 1-line block ×3, first 2 shown]
	v_pk_add_f16 v18, v19, v18 neg_lo:[0,1] neg_hi:[0,1]
	s_movk_i32 s12, 0x3846
	v_pk_add_f16 v17, v49, v17
	v_pk_mul_f16 v49, v48, s8 op_sel_hi:[1,0]
	v_pk_mul_f16 v54, v21, s9 op_sel_hi:[1,0]
	v_pk_fma_f16 v52, v52, s10, v56 op_sel_hi:[1,0,1] neg_lo:[1,0,1] neg_hi:[1,0,1]
	s_mov_b32 s10, 0xb70e
	v_pk_mul_f16 v19, v18, s12 op_sel_hi:[1,0]
	v_alignbit_b32 v51, s0, v50, 16
	v_pk_fma_f16 v18, v18, s12, v55 op_sel_hi:[1,0,1]
	v_pk_add_f16 v54, v49, v54 op_sel:[1,1] op_sel_hi:[0,0] neg_lo:[1,1] neg_hi:[1,1]
	v_pk_fma_f16 v48, v48, s8, v50 op_sel_hi:[1,0,1]
	v_pk_add_f16 v49, v51, v49 op_sel:[0,1] op_sel_hi:[1,0]
	v_pk_fma_f16 v19, v53, s11, v19 op_sel_hi:[1,0,1] neg_lo:[0,0,1] neg_hi:[0,0,1]
	v_pk_fma_f16 v18, v17, s10, v18 op_sel_hi:[1,0,1]
	v_pk_fma_f16 v52, v17, s10, v52 op_sel_hi:[1,0,1]
	v_pk_fma_f16 v21, v21, s9, v50 op_sel_hi:[1,0,1] neg_lo:[0,0,1] neg_hi:[0,0,1]
	v_pk_add_f16 v48, v48, v20
	v_pk_add_f16 v49, v49, v20 op_sel:[0,1] op_sel_hi:[1,0]
	v_pk_fma_f16 v17, v17, s10, v19 op_sel_hi:[1,0,1]
	v_alignbit_b32 v19, s0, v18, 16
	v_pk_add_f16 v54, v54, v20 op_sel:[0,1] op_sel_hi:[1,0]
	v_pk_add_f16 v20, v21, v20
	v_pk_add_f16 v21, v48, v19
	v_pk_add_f16 v50, v49, v18 neg_lo:[0,1] neg_hi:[0,1]
	v_pk_add_f16 v56, v54, v52
	v_pk_add_f16 v52, v54, v52 neg_lo:[0,1] neg_hi:[0,1]
	v_pk_add_f16 v51, v20, v17 op_sel:[0,1] op_sel_hi:[1,0] neg_lo:[0,1] neg_hi:[0,1]
	v_pk_add_f16 v17, v20, v17 op_sel:[0,1] op_sel_hi:[1,0]
	s_mov_b32 s8, 0xffff
	v_pk_add_f16 v49, v18, v49
	v_pack_b32_f16 v18, v21, v50
	v_alignbit_b32 v54, v52, v56, 16
	v_bfi_b32 v20, s8, v51, v17
	v_pk_add_f16 v48, v48, v19 neg_lo:[0,1] neg_hi:[0,1]
	ds_write2_b32 v37, v16, v18 offset1:1
	ds_write2_b32 v37, v54, v20 offset0:2 offset1:3
	v_bfi_b32 v16, s8, v17, v51
	v_alignbit_b32 v17, v56, v52, 16
	ds_write2_b32 v37, v16, v17 offset0:4 offset1:5
	v_pack_b32_f16 v16, v48, v49
	ds_write_b32 v37, v16 offset:24
	s_waitcnt lgkmcnt(0)
	s_barrier
	ds_read2_b32 v[18:19], v31 offset1:12
	ds_read2_b32 v[16:17], v31 offset0:24 offset1:42
	ds_read2_b32 v[20:21], v31 offset0:54 offset1:66
	s_and_saveexec_b64 s[8:9], vcc
	s_cbranch_execz .LBB0_11
; %bb.10:
	ds_read_b32 v48, v9 offset:144
	ds_read_b32 v22, v31 offset:312
	s_waitcnt lgkmcnt(1)
	v_lshrrev_b32_e32 v49, 16, v48
	s_waitcnt lgkmcnt(0)
	v_lshrrev_b32_e32 v23, 16, v22
.LBB0_11:
	s_or_b64 exec, exec, s[8:9]
	s_waitcnt lgkmcnt(1)
	v_lshrrev_b32_e32 v50, 16, v17
	v_mul_f16_sdwa v55, v39, v50 dst_sel:DWORD dst_unused:UNUSED_PAD src0_sel:WORD_1 src1_sel:DWORD
	s_waitcnt lgkmcnt(0)
	v_lshrrev_b32_e32 v52, 16, v20
	v_fma_f16 v55, v39, v17, v55
	v_mul_f16_sdwa v17, v39, v17 dst_sel:DWORD dst_unused:UNUSED_PAD src0_sel:WORD_1 src1_sel:DWORD
	v_fma_f16 v17, v39, v50, -v17
	v_mul_f16_sdwa v39, v41, v52 dst_sel:DWORD dst_unused:UNUSED_PAD src0_sel:WORD_1 src1_sel:DWORD
	v_lshrrev_b32_e32 v54, 16, v21
	v_fma_f16 v39, v41, v20, v39
	v_mul_f16_sdwa v20, v41, v20 dst_sel:DWORD dst_unused:UNUSED_PAD src0_sel:WORD_1 src1_sel:DWORD
	v_fma_f16 v20, v41, v52, -v20
	v_mul_f16_sdwa v41, v40, v54 dst_sel:DWORD dst_unused:UNUSED_PAD src0_sel:WORD_1 src1_sel:DWORD
	v_fma_f16 v41, v40, v21, v41
	v_mul_f16_sdwa v21, v40, v21 dst_sel:DWORD dst_unused:UNUSED_PAD src0_sel:WORD_1 src1_sel:DWORD
	v_fma_f16 v21, v40, v54, -v21
	v_mul_f16_sdwa v40, v42, v23 dst_sel:DWORD dst_unused:UNUSED_PAD src0_sel:WORD_1 src1_sel:DWORD
	v_lshrrev_b32_e32 v37, 16, v18
	v_fma_f16 v40, v42, v22, v40
	v_mul_f16_sdwa v22, v42, v22 dst_sel:DWORD dst_unused:UNUSED_PAD src0_sel:WORD_1 src1_sel:DWORD
	v_lshrrev_b32_e32 v51, 16, v19
	v_fma_f16 v22, v42, v23, -v22
	v_sub_f16_e32 v23, v18, v55
	v_sub_f16_e32 v42, v37, v17
	v_lshrrev_b32_e32 v53, 16, v16
	v_fma_f16 v18, v18, 2.0, -v23
	v_fma_f16 v50, v37, 2.0, -v42
	v_sub_f16_e32 v52, v19, v39
	v_sub_f16_e32 v20, v51, v20
	v_fma_f16 v19, v19, 2.0, -v52
	v_fma_f16 v51, v51, 2.0, -v20
	v_sub_f16_e32 v41, v16, v41
	v_sub_f16_e32 v21, v53, v21
	;; [unrolled: 1-line block ×3, first 2 shown]
	v_pack_b32_f16 v18, v18, v50
	v_pack_b32_f16 v22, v23, v42
	v_fma_f16 v54, v16, 2.0, -v41
	v_fma_f16 v53, v53, 2.0, -v21
	v_sub_f16_e32 v17, v48, v40
	s_barrier
	ds_write2_b32 v44, v18, v22 offset1:7
	v_pack_b32_f16 v18, v19, v51
	v_pack_b32_f16 v19, v52, v20
	v_fma_f16 v16, v48, 2.0, -v17
	v_fma_f16 v37, v49, 2.0, -v39
	ds_write2_b32 v45, v18, v19 offset1:7
	v_pack_b32_f16 v18, v54, v53
	v_pack_b32_f16 v19, v41, v21
	ds_write2_b32 v46, v18, v19 offset1:7
	s_and_saveexec_b64 s[8:9], vcc
	s_cbranch_execz .LBB0_13
; %bb.12:
	v_and_b32_e32 v18, 0xff, v38
	s_mov_b32 s10, 0x5040100
	v_lshl_add_u32 v18, v18, 2, v36
	v_perm_b32 v19, v37, v16, s10
	v_perm_b32 v20, v39, v17, s10
	ds_write2_b32 v18, v19, v20 offset0:70 offset1:77
.LBB0_13:
	s_or_b64 exec, exec, s[8:9]
	s_waitcnt lgkmcnt(0)
	s_barrier
	ds_read2_b32 v[18:19], v31 offset1:14
	ds_read2_b32 v[22:23], v31 offset0:28 offset1:42
	ds_read2_b32 v[20:21], v31 offset0:56 offset1:70
	s_and_saveexec_b64 s[8:9], s[0:1]
	s_cbranch_execz .LBB0_15
; %bb.14:
	ds_read2_b32 v[16:17], v31 offset0:12 offset1:26
	ds_read2_b32 v[12:13], v31 offset0:40 offset1:54
	;; [unrolled: 1-line block ×3, first 2 shown]
	s_waitcnt lgkmcnt(2)
	v_lshrrev_b32_e32 v37, 16, v16
	v_lshrrev_b32_e32 v39, 16, v17
	s_waitcnt lgkmcnt(1)
	v_lshrrev_b32_e32 v26, 16, v12
	v_lshrrev_b32_e32 v24, 16, v13
	;; [unrolled: 3-line block ×3, first 2 shown]
.LBB0_15:
	s_or_b64 exec, exec, s[8:9]
	s_waitcnt lgkmcnt(2)
	v_lshrrev_b32_e32 v38, 16, v19
	v_mul_f16_sdwa v45, v4, v38 dst_sel:DWORD dst_unused:UNUSED_PAD src0_sel:WORD_1 src1_sel:DWORD
	s_waitcnt lgkmcnt(1)
	v_lshrrev_b32_e32 v40, 16, v22
	v_fma_f16 v45, v4, v19, v45
	v_mul_f16_sdwa v19, v4, v19 dst_sel:DWORD dst_unused:UNUSED_PAD src0_sel:WORD_1 src1_sel:DWORD
	v_fma_f16 v4, v4, v38, -v19
	v_mul_f16_sdwa v19, v5, v40 dst_sel:DWORD dst_unused:UNUSED_PAD src0_sel:WORD_1 src1_sel:DWORD
	v_lshrrev_b32_e32 v41, 16, v23
	v_fma_f16 v19, v5, v22, v19
	v_mul_f16_sdwa v22, v5, v22 dst_sel:DWORD dst_unused:UNUSED_PAD src0_sel:WORD_1 src1_sel:DWORD
	v_fma_f16 v5, v5, v40, -v22
	v_mul_f16_sdwa v22, v6, v41 dst_sel:DWORD dst_unused:UNUSED_PAD src0_sel:WORD_1 src1_sel:DWORD
	s_waitcnt lgkmcnt(0)
	v_lshrrev_b32_e32 v42, 16, v20
	v_fma_f16 v22, v6, v23, v22
	v_mul_f16_sdwa v23, v6, v23 dst_sel:DWORD dst_unused:UNUSED_PAD src0_sel:WORD_1 src1_sel:DWORD
	v_fma_f16 v6, v6, v41, -v23
	v_mul_f16_sdwa v23, v7, v42 dst_sel:DWORD dst_unused:UNUSED_PAD src0_sel:WORD_1 src1_sel:DWORD
	v_fma_f16 v23, v7, v20, v23
	v_mul_f16_sdwa v20, v7, v20 dst_sel:DWORD dst_unused:UNUSED_PAD src0_sel:WORD_1 src1_sel:DWORD
	v_lshrrev_b32_e32 v44, 16, v21
	v_fma_f16 v7, v7, v42, -v20
	v_add_f16_e32 v40, v19, v23
	v_lshrrev_b32_e32 v36, 16, v18
	v_mul_f16_sdwa v20, v47, v44 dst_sel:DWORD dst_unused:UNUSED_PAD src0_sel:WORD_1 src1_sel:DWORD
	v_add_f16_e32 v38, v18, v19
	v_fma_f16 v18, v40, -0.5, v18
	v_sub_f16_e32 v40, v5, v7
	s_mov_b32 s10, 0xbaee
	s_movk_i32 s11, 0x3aee
	v_fma_f16 v20, v47, v21, v20
	v_mul_f16_sdwa v21, v47, v21 dst_sel:DWORD dst_unused:UNUSED_PAD src0_sel:WORD_1 src1_sel:DWORD
	v_fma_f16 v41, v40, s10, v18
	v_fma_f16 v18, v40, s11, v18
	v_add_f16_e32 v40, v36, v5
	v_fma_f16 v21, v47, v44, -v21
	v_add_f16_e32 v38, v38, v23
	v_add_f16_e32 v40, v40, v7
	;; [unrolled: 1-line block ×3, first 2 shown]
	v_sub_f16_e32 v7, v19, v23
	v_add_f16_e32 v23, v22, v20
	v_fma_f16 v5, v5, -0.5, v36
	v_fma_f16 v23, v23, -0.5, v45
	v_sub_f16_e32 v36, v6, v21
	v_fma_f16 v42, v36, s10, v23
	v_fma_f16 v23, v36, s11, v23
	v_add_f16_e32 v36, v4, v6
	v_add_f16_e32 v6, v6, v21
	v_fma_f16 v19, v7, s11, v5
	v_fma_f16 v5, v7, s10, v5
	v_add_f16_e32 v7, v45, v22
	v_fma_f16 v4, v6, -0.5, v4
	v_sub_f16_e32 v6, v22, v20
	v_add_f16_e32 v7, v7, v20
	v_fma_f16 v20, v6, s11, v4
	v_fma_f16 v4, v6, s10, v4
	v_add_f16_e32 v36, v36, v21
	v_mul_f16_e32 v21, 0xbaee, v20
	v_mul_f16_e32 v44, 0xbaee, v4
	v_mul_f16_e32 v20, 0.5, v20
	v_mul_f16_e32 v4, -0.5, v4
	v_add_f16_e32 v6, v38, v7
	v_fma_f16 v21, v42, 0.5, v21
	v_fma_f16 v44, v23, -0.5, v44
	v_add_f16_e32 v46, v40, v36
	v_fma_f16 v20, v42, s11, v20
	v_fma_f16 v4, v23, s11, v4
	v_add_f16_e32 v22, v41, v21
	v_add_f16_e32 v45, v18, v44
	;; [unrolled: 1-line block ×4, first 2 shown]
	v_sub_f16_e32 v4, v5, v4
	v_pack_b32_f16 v5, v6, v46
	v_sub_f16_e32 v7, v38, v7
	v_sub_f16_e32 v21, v41, v21
	;; [unrolled: 1-line block ×5, first 2 shown]
	ds_write_b32 v31, v5
	v_pack_b32_f16 v5, v22, v42
	v_pack_b32_f16 v6, v45, v23
	ds_write2_b32 v9, v5, v6 offset0:14 offset1:28
	v_pack_b32_f16 v5, v7, v36
	v_pack_b32_f16 v6, v21, v19
	v_pack_b32_f16 v4, v18, v4
	ds_write2_b32 v9, v5, v6 offset0:42 offset1:56
	ds_write_b32 v9, v4 offset:280
	s_and_saveexec_b64 s[8:9], s[0:1]
	s_cbranch_execz .LBB0_17
; %bb.16:
	v_mul_f16_sdwa v4, v1, v12 dst_sel:DWORD dst_unused:UNUSED_PAD src0_sel:WORD_1 src1_sel:DWORD
	v_mul_f16_sdwa v7, v1, v26 dst_sel:DWORD dst_unused:UNUSED_PAD src0_sel:WORD_1 src1_sel:DWORD
	;; [unrolled: 1-line block ×3, first 2 shown]
	v_fma_f16 v4, v1, v26, -v4
	v_mul_f16_sdwa v5, v3, v14 dst_sel:DWORD dst_unused:UNUSED_PAD src0_sel:WORD_1 src1_sel:DWORD
	v_fma_f16 v1, v1, v12, v7
	v_mul_f16_sdwa v7, v3, v27 dst_sel:DWORD dst_unused:UNUSED_PAD src0_sel:WORD_1 src1_sel:DWORD
	v_fma_f16 v18, v2, v13, v18
	v_mul_f16_sdwa v13, v2, v13 dst_sel:DWORD dst_unused:UNUSED_PAD src0_sel:WORD_1 src1_sel:DWORD
	v_fma_f16 v5, v3, v27, -v5
	v_fma_f16 v3, v3, v14, v7
	v_mul_f16_sdwa v14, v0, v39 dst_sel:DWORD dst_unused:UNUSED_PAD src0_sel:WORD_1 src1_sel:DWORD
	v_fma_f16 v2, v2, v24, -v13
	v_mul_f16_sdwa v13, v43, v15 dst_sel:DWORD dst_unused:UNUSED_PAD src0_sel:WORD_1 src1_sel:DWORD
	v_fma_f16 v14, v0, v17, v14
	v_mul_f16_sdwa v19, v43, v25 dst_sel:DWORD dst_unused:UNUSED_PAD src0_sel:WORD_1 src1_sel:DWORD
	v_fma_f16 v13, v43, v25, -v13
	v_mul_f16_sdwa v17, v0, v17 dst_sel:DWORD dst_unused:UNUSED_PAD src0_sel:WORD_1 src1_sel:DWORD
	v_fma_f16 v19, v43, v15, v19
	v_fma_f16 v0, v0, v39, -v17
	v_add_f16_e32 v17, v2, v13
	v_add_f16_e32 v6, v4, v5
	;; [unrolled: 1-line block ×3, first 2 shown]
	v_fma_f16 v17, v17, -0.5, v0
	v_add_f16_e32 v0, v2, v0
	v_fma_f16 v6, v6, -0.5, v37
	v_sub_f16_e32 v7, v1, v3
	v_fma_f16 v20, v20, -0.5, v14
	v_sub_f16_e32 v15, v2, v13
	v_sub_f16_e32 v22, v18, v19
	v_add_f16_e32 v0, v13, v0
	v_add_f16_e32 v13, v1, v3
	;; [unrolled: 1-line block ×3, first 2 shown]
	v_fma_f16 v12, v7, s10, v6
	v_fma_f16 v21, v15, s11, v20
	v_fma_f16 v23, v22, s10, v17
	v_fma_f16 v6, v7, s11, v6
	v_fma_f16 v7, v15, s10, v20
	v_fma_f16 v15, v22, s11, v17
	v_add_f16_e32 v22, v4, v37
	v_fma_f16 v13, v13, -0.5, v16
	v_sub_f16_e32 v4, v4, v5
	v_add_f16_e32 v1, v3, v1
	v_add_f16_e32 v3, v18, v14
	v_mul_f16_e32 v24, -0.5, v23
	v_mul_f16_e32 v17, 0.5, v15
	v_add_f16_e32 v22, v5, v22
	v_fma_f16 v5, v4, s11, v13
	v_mul_f16_e32 v23, 0xbaee, v23
	v_fma_f16 v4, v4, s10, v13
	v_mul_f16_e32 v13, 0xbaee, v15
	v_add_f16_e32 v3, v19, v3
	v_fma_f16 v24, v21, s11, v24
	v_fma_f16 v17, v7, s11, v17
	v_sub_f16_e32 v2, v22, v0
	v_fma_f16 v21, v21, -0.5, v23
	v_fma_f16 v7, v7, 0.5, v13
	v_sub_f16_e32 v14, v1, v3
	v_add_f16_e32 v0, v22, v0
	v_add_f16_e32 v1, v1, v3
	v_sub_f16_e32 v25, v12, v24
	v_sub_f16_e32 v20, v6, v17
	v_sub_f16_e32 v23, v5, v21
	v_sub_f16_e32 v13, v4, v7
	v_add_f16_e32 v12, v12, v24
	v_add_f16_e32 v6, v6, v17
	;; [unrolled: 1-line block ×4, first 2 shown]
	v_pack_b32_f16 v0, v1, v0
	ds_write_b32 v31, v0 offset:48
	v_pack_b32_f16 v0, v4, v6
	v_pack_b32_f16 v1, v5, v12
	ds_write2_b32 v9, v0, v1 offset0:26 offset1:40
	v_pack_b32_f16 v0, v14, v2
	v_pack_b32_f16 v1, v13, v20
	ds_write2_b32 v9, v0, v1 offset0:54 offset1:68
	v_pack_b32_f16 v0, v23, v25
	ds_write_b32 v9, v0 offset:328
.LBB0_17:
	s_or_b64 exec, exec, s[8:9]
	s_waitcnt lgkmcnt(0)
	s_barrier
	ds_read2_b32 v[4:5], v31 offset1:12
	v_mad_u64_u32 v[6:7], s[0:1], s6, v10, 0
	v_mov_b32_e32 v2, v7
	v_mov_b32_e32 v0, s2
	s_waitcnt lgkmcnt(0)
	v_lshrrev_b32_e32 v12, 16, v4
	v_mul_f16_sdwa v3, v35, v12 dst_sel:DWORD dst_unused:UNUSED_PAD src0_sel:WORD_1 src1_sel:DWORD
	v_fma_f16 v3, v35, v4, v3
	v_cvt_f32_f16_e32 v13, v3
	v_mov_b32_e32 v1, s3
	v_mad_u64_u32 v[2:3], s[0:1], s7, v10, v[2:3]
	s_mov_b32 s2, 0x18618618
	v_mov_b32_e32 v7, v2
	v_cvt_f64_f32_e32 v[2:3], v13
	s_mov_b32 s3, 0x3f886186
	v_mul_f64 v[2:3], v[2:3], s[2:3]
	s_movk_i32 s6, 0x1ff
	v_and_or_b32 v2, v3, s6, v2
	v_cmp_ne_u32_e32 vcc, 0, v2
	v_lshrrev_b32_e32 v10, 8, v3
	s_movk_i32 s7, 0xffe
	v_cndmask_b32_e64 v2, 0, 1, vcc
	v_bfe_u32 v13, v3, 20, 11
	v_and_or_b32 v10, v10, s7, v2
	v_sub_u32_e32 v14, 0x3f1, v13
	v_or_b32_e32 v2, 0x1000, v10
	v_med3_i32 v14, v14, 0, 13
	v_lshrrev_b32_e32 v15, v14, v2
	v_lshlrev_b32_e32 v14, v14, v15
	v_cmp_ne_u32_e32 vcc, v14, v2
	v_add_u32_e32 v13, 0xfffffc10, v13
	v_lshl_or_b32 v14, v13, 12, v10
	v_cndmask_b32_e64 v2, 0, 1, vcc
	v_or_b32_e32 v2, v15, v2
	v_cmp_gt_i32_e32 vcc, 1, v13
	v_mul_f16_sdwa v4, v35, v4 dst_sel:DWORD dst_unused:UNUSED_PAD src0_sel:WORD_1 src1_sel:DWORD
	v_fma_f16 v4, v35, v12, -v4
	v_cndmask_b32_e32 v2, v14, v2, vcc
	v_and_b32_e32 v14, 7, v2
	v_cmp_lt_i32_e32 vcc, 5, v14
	v_cmp_eq_u32_e64 s[0:1], 3, v14
	v_lshrrev_b32_e32 v2, 2, v2
	s_or_b64 vcc, s[0:1], vcc
	v_cvt_f32_f16_e32 v4, v4
	v_addc_co_u32_e32 v14, vcc, 0, v2, vcc
	v_mov_b32_e32 v2, 0x7c00
	v_cmp_gt_i32_e32 vcc, 31, v13
	s_movk_i32 s8, 0x40f
	s_mov_b32 s9, 0x8000
	v_cndmask_b32_e32 v14, v2, v14, vcc
	v_cmp_ne_u32_e32 vcc, 0, v10
	v_and_b32_sdwa v3, v3, s9 dst_sel:DWORD dst_unused:UNUSED_PAD src0_sel:WORD_1 src1_sel:DWORD
	s_mov_b32 s10, 0xffff
	v_cndmask_b32_e64 v10, 0, 1, vcc
	v_cmp_eq_u32_e32 vcc, s8, v13
	v_cvt_f64_f32_e32 v[12:13], v4
	v_mul_f64 v[12:13], v[12:13], s[2:3]
	v_lshl_or_b32 v10, v10, 9, v2
	v_and_or_b32 v4, v13, s6, v12
	v_cndmask_b32_e32 v10, v14, v10, vcc
	v_cmp_ne_u32_e32 vcc, 0, v4
	v_lshrrev_b32_e32 v12, 8, v13
	v_bfe_u32 v14, v13, 20, 11
	v_cndmask_b32_e64 v4, 0, 1, vcc
	v_and_or_b32 v4, v12, s7, v4
	v_sub_u32_e32 v15, 0x3f1, v14
	v_or_b32_e32 v12, 0x1000, v4
	v_med3_i32 v15, v15, 0, 13
	v_lshrrev_b32_e32 v16, v15, v12
	v_lshlrev_b32_e32 v15, v15, v16
	v_cmp_ne_u32_e32 vcc, v15, v12
	v_add_u32_e32 v14, 0xfffffc10, v14
	v_lshl_or_b32 v15, v14, 12, v4
	v_cndmask_b32_e64 v12, 0, 1, vcc
	v_or_b32_e32 v12, v16, v12
	v_cmp_gt_i32_e32 vcc, 1, v14
	v_lshl_add_u64 v[0:1], v[6:7], 2, v[0:1]
	v_bitop3_b32 v3, v3, s10, v10 bitop3:0xc8
	v_cndmask_b32_e32 v12, v15, v12, vcc
	v_and_b32_e32 v15, 7, v12
	v_cmp_lt_i32_e32 vcc, 5, v15
	v_cmp_eq_u32_e64 s[0:1], 3, v15
	v_lshrrev_b32_e32 v12, 2, v12
	s_or_b64 vcc, s[0:1], vcc
	v_addc_co_u32_e32 v12, vcc, 0, v12, vcc
	v_cmp_gt_i32_e32 vcc, 31, v14
	s_mul_i32 s11, s5, 48
	s_nop 0
	v_cndmask_b32_e32 v12, v2, v12, vcc
	v_cmp_ne_u32_e32 vcc, 0, v4
	s_nop 1
	v_cndmask_b32_e64 v4, 0, 1, vcc
	v_lshl_or_b32 v4, v4, 9, v2
	v_cmp_eq_u32_e32 vcc, s8, v14
	s_nop 1
	v_cndmask_b32_e32 v4, v12, v4, vcc
	v_lshrrev_b32_e32 v12, 16, v13
	v_and_or_b32 v16, v12, s9, v4
	v_mad_u64_u32 v[12:13], s[0:1], s4, v8, 0
	v_mov_b32_e32 v4, v13
	v_mad_u64_u32 v[14:15], s[0:1], s5, v8, v[4:5]
	v_lshrrev_b32_e32 v4, 16, v5
	v_mul_f16_sdwa v8, v34, v4 dst_sel:DWORD dst_unused:UNUSED_PAD src0_sel:WORD_1 src1_sel:DWORD
	v_fma_f16 v8, v34, v5, v8
	v_cvt_f32_f16_e32 v8, v8
	v_mov_b32_e32 v13, v14
	v_lshl_add_u64 v[6:7], v[12:13], 2, v[0:1]
	v_lshl_or_b32 v3, v16, 16, v3
	v_cvt_f64_f32_e32 v[12:13], v8
	v_mul_f64 v[12:13], v[12:13], s[2:3]
	global_store_dword v[6:7], v3, off
	v_and_or_b32 v3, v13, s6, v12
	v_cmp_ne_u32_e32 vcc, 0, v3
	v_lshrrev_b32_e32 v8, 8, v13
	v_bfe_u32 v10, v13, 20, 11
	v_cndmask_b32_e64 v3, 0, 1, vcc
	v_and_or_b32 v3, v8, s7, v3
	v_sub_u32_e32 v12, 0x3f1, v10
	v_or_b32_e32 v8, 0x1000, v3
	v_med3_i32 v12, v12, 0, 13
	v_lshrrev_b32_e32 v14, v12, v8
	v_lshlrev_b32_e32 v12, v12, v14
	v_cmp_ne_u32_e32 vcc, v12, v8
	v_add_u32_e32 v10, 0xfffffc10, v10
	v_lshl_or_b32 v12, v10, 12, v3
	v_cndmask_b32_e64 v8, 0, 1, vcc
	v_or_b32_e32 v8, v14, v8
	v_cmp_gt_i32_e32 vcc, 1, v10
	v_mul_f16_sdwa v5, v34, v5 dst_sel:DWORD dst_unused:UNUSED_PAD src0_sel:WORD_1 src1_sel:DWORD
	v_fma_f16 v4, v34, v4, -v5
	v_cndmask_b32_e32 v8, v12, v8, vcc
	v_and_b32_e32 v12, 7, v8
	v_cmp_lt_i32_e32 vcc, 5, v12
	v_cmp_eq_u32_e64 s[0:1], 3, v12
	v_cvt_f32_f16_e32 v4, v4
	v_lshrrev_b32_e32 v8, 2, v8
	s_or_b64 vcc, s[0:1], vcc
	v_addc_co_u32_e32 v8, vcc, 0, v8, vcc
	v_cmp_gt_i32_e32 vcc, 31, v10
	v_cvt_f64_f32_e32 v[4:5], v4
	v_mul_f64 v[4:5], v[4:5], s[2:3]
	v_cndmask_b32_e32 v8, v2, v8, vcc
	v_cmp_ne_u32_e32 vcc, 0, v3
	v_and_or_b32 v4, v5, s6, v4
	v_bfe_u32 v12, v5, 20, 11
	v_cndmask_b32_e64 v3, 0, 1, vcc
	v_lshl_or_b32 v3, v3, 9, v2
	v_cmp_eq_u32_e32 vcc, s8, v10
	v_lshrrev_b32_e32 v10, 8, v5
	v_lshrrev_b32_e32 v5, 16, v5
	v_cndmask_b32_e32 v3, v8, v3, vcc
	v_cmp_ne_u32_e32 vcc, 0, v4
	v_and_b32_sdwa v8, v13, s9 dst_sel:DWORD dst_unused:UNUSED_PAD src0_sel:WORD_1 src1_sel:DWORD
	v_sub_u32_e32 v13, 0x3f1, v12
	v_cndmask_b32_e64 v4, 0, 1, vcc
	v_and_or_b32 v4, v10, s7, v4
	v_or_b32_e32 v10, 0x1000, v4
	v_med3_i32 v13, v13, 0, 13
	v_lshrrev_b32_e32 v14, v13, v10
	v_lshlrev_b32_e32 v13, v13, v14
	v_cmp_ne_u32_e32 vcc, v13, v10
	v_add_u32_e32 v12, 0xfffffc10, v12
	v_lshl_or_b32 v13, v12, 12, v4
	v_cndmask_b32_e64 v10, 0, 1, vcc
	v_or_b32_e32 v10, v14, v10
	v_cmp_gt_i32_e32 vcc, 1, v12
	v_bitop3_b32 v3, v8, s10, v3 bitop3:0xc8
	s_nop 0
	v_cndmask_b32_e32 v10, v13, v10, vcc
	v_and_b32_e32 v13, 7, v10
	v_cmp_lt_i32_e32 vcc, 5, v13
	v_cmp_eq_u32_e64 s[0:1], 3, v13
	v_lshrrev_b32_e32 v10, 2, v10
	s_or_b64 vcc, s[0:1], vcc
	v_addc_co_u32_e32 v10, vcc, 0, v10, vcc
	v_cmp_gt_i32_e32 vcc, 31, v12
	v_mad_u64_u32 v[6:7], s[0:1], s4, 48, v[6:7]
	s_nop 0
	v_cndmask_b32_e32 v10, v2, v10, vcc
	v_cmp_ne_u32_e32 vcc, 0, v4
	v_add_u32_e32 v7, s11, v7
	s_nop 0
	v_cndmask_b32_e64 v4, 0, 1, vcc
	v_lshl_or_b32 v4, v4, 9, v2
	v_cmp_eq_u32_e32 vcc, s8, v12
	s_nop 1
	v_cndmask_b32_e32 v4, v10, v4, vcc
	v_and_or_b32 v10, v5, s9, v4
	ds_read2_b32 v[4:5], v31 offset0:24 offset1:48
	v_lshl_or_b32 v3, v10, 16, v3
	global_store_dword v[6:7], v3, off
	s_waitcnt lgkmcnt(0)
	v_lshrrev_b32_e32 v8, 16, v4
	v_mul_f16_sdwa v10, v33, v8 dst_sel:DWORD dst_unused:UNUSED_PAD src0_sel:WORD_1 src1_sel:DWORD
	v_fma_f16 v10, v33, v4, v10
	v_cvt_f32_f16_e32 v10, v10
	v_mul_f16_sdwa v4, v33, v4 dst_sel:DWORD dst_unused:UNUSED_PAD src0_sel:WORD_1 src1_sel:DWORD
	v_fma_f16 v4, v33, v8, -v4
	v_cvt_f32_f16_e32 v4, v4
	v_cvt_f64_f32_e32 v[12:13], v10
	v_mul_f64 v[12:13], v[12:13], s[2:3]
	v_and_or_b32 v3, v13, s6, v12
	v_cmp_ne_u32_e32 vcc, 0, v3
	v_lshrrev_b32_e32 v10, 8, v13
	v_bfe_u32 v12, v13, 20, 11
	v_cndmask_b32_e64 v3, 0, 1, vcc
	v_and_or_b32 v3, v10, s7, v3
	v_sub_u32_e32 v14, 0x3f1, v12
	v_or_b32_e32 v10, 0x1000, v3
	v_med3_i32 v14, v14, 0, 13
	v_lshrrev_b32_e32 v15, v14, v10
	v_lshlrev_b32_e32 v14, v14, v15
	v_cmp_ne_u32_e32 vcc, v14, v10
	v_add_u32_e32 v12, 0xfffffc10, v12
	v_lshl_or_b32 v14, v12, 12, v3
	v_cndmask_b32_e64 v10, 0, 1, vcc
	v_or_b32_e32 v10, v15, v10
	v_cmp_gt_i32_e32 vcc, 1, v12
	v_and_b32_sdwa v8, v13, s9 dst_sel:DWORD dst_unused:UNUSED_PAD src0_sel:WORD_1 src1_sel:DWORD
	s_nop 0
	v_cndmask_b32_e32 v10, v14, v10, vcc
	v_and_b32_e32 v14, 7, v10
	v_cmp_lt_i32_e32 vcc, 5, v14
	v_cmp_eq_u32_e64 s[0:1], 3, v14
	v_lshrrev_b32_e32 v10, 2, v10
	s_or_b64 vcc, s[0:1], vcc
	v_addc_co_u32_e32 v10, vcc, 0, v10, vcc
	v_cmp_gt_i32_e32 vcc, 31, v12
	s_nop 1
	v_cndmask_b32_e32 v10, v2, v10, vcc
	v_cmp_ne_u32_e32 vcc, 0, v3
	s_nop 1
	v_cndmask_b32_e64 v3, 0, 1, vcc
	v_cmp_eq_u32_e32 vcc, s8, v12
	v_cvt_f64_f32_e32 v[12:13], v4
	v_mul_f64 v[12:13], v[12:13], s[2:3]
	v_lshl_or_b32 v3, v3, 9, v2
	v_and_or_b32 v4, v13, s6, v12
	v_cndmask_b32_e32 v3, v10, v3, vcc
	v_cmp_ne_u32_e32 vcc, 0, v4
	v_lshrrev_b32_e32 v10, 8, v13
	v_bfe_u32 v12, v13, 20, 11
	v_cndmask_b32_e64 v4, 0, 1, vcc
	v_and_or_b32 v4, v10, s7, v4
	v_sub_u32_e32 v14, 0x3f1, v12
	v_or_b32_e32 v10, 0x1000, v4
	v_med3_i32 v14, v14, 0, 13
	v_lshrrev_b32_e32 v15, v14, v10
	v_lshlrev_b32_e32 v14, v14, v15
	v_cmp_ne_u32_e32 vcc, v14, v10
	v_add_u32_e32 v12, 0xfffffc10, v12
	v_lshl_or_b32 v14, v12, 12, v4
	v_cndmask_b32_e64 v10, 0, 1, vcc
	v_or_b32_e32 v10, v15, v10
	v_cmp_gt_i32_e32 vcc, 1, v12
	v_bitop3_b32 v3, v8, s10, v3 bitop3:0xc8
	s_nop 0
	v_cndmask_b32_e32 v10, v14, v10, vcc
	v_and_b32_e32 v14, 7, v10
	v_cmp_lt_i32_e32 vcc, 5, v14
	v_cmp_eq_u32_e64 s[0:1], 3, v14
	v_lshrrev_b32_e32 v10, 2, v10
	s_or_b64 vcc, s[0:1], vcc
	v_addc_co_u32_e32 v10, vcc, 0, v10, vcc
	v_cmp_gt_i32_e32 vcc, 31, v12
	v_mad_u64_u32 v[6:7], s[0:1], s4, 48, v[6:7]
	s_nop 0
	v_cndmask_b32_e32 v10, v2, v10, vcc
	v_cmp_ne_u32_e32 vcc, 0, v4
	v_add_u32_e32 v7, s11, v7
	s_nop 0
	v_cndmask_b32_e64 v4, 0, 1, vcc
	v_lshl_or_b32 v4, v4, 9, v2
	v_cmp_eq_u32_e32 vcc, s8, v12
	s_nop 1
	v_cndmask_b32_e32 v4, v10, v4, vcc
	ds_read_b32 v10, v9 offset:144
	v_lshrrev_b32_e32 v9, 16, v13
	v_and_or_b32 v4, v9, s9, v4
	v_lshl_or_b32 v3, v4, 16, v3
	global_store_dword v[6:7], v3, off
	s_waitcnt lgkmcnt(0)
	v_lshrrev_b32_e32 v4, 16, v10
	v_mul_f16_sdwa v8, v32, v4 dst_sel:DWORD dst_unused:UNUSED_PAD src0_sel:WORD_1 src1_sel:DWORD
	v_fma_f16 v8, v32, v10, v8
	v_cvt_f32_f16_e32 v8, v8
	v_mul_f16_sdwa v10, v32, v10 dst_sel:DWORD dst_unused:UNUSED_PAD src0_sel:WORD_1 src1_sel:DWORD
	v_fma_f16 v4, v32, v4, -v10
	v_cvt_f32_f16_e32 v4, v4
	v_cvt_f64_f32_e32 v[8:9], v8
	v_mul_f64 v[8:9], v[8:9], s[2:3]
	v_and_or_b32 v3, v9, s6, v8
	v_cmp_ne_u32_e32 vcc, 0, v3
	v_lshrrev_b32_e32 v8, 8, v9
	v_bfe_u32 v12, v9, 20, 11
	v_cndmask_b32_e64 v3, 0, 1, vcc
	v_and_or_b32 v3, v8, s7, v3
	v_sub_u32_e32 v13, 0x3f1, v12
	v_or_b32_e32 v8, 0x1000, v3
	v_med3_i32 v13, v13, 0, 13
	v_lshrrev_b32_e32 v14, v13, v8
	v_lshlrev_b32_e32 v13, v13, v14
	v_cmp_ne_u32_e32 vcc, v13, v8
	v_add_u32_e32 v12, 0xfffffc10, v12
	v_lshl_or_b32 v13, v12, 12, v3
	v_cndmask_b32_e64 v8, 0, 1, vcc
	v_or_b32_e32 v8, v14, v8
	v_cmp_gt_i32_e32 vcc, 1, v12
	v_and_b32_sdwa v10, v9, s9 dst_sel:DWORD dst_unused:UNUSED_PAD src0_sel:WORD_1 src1_sel:DWORD
	s_nop 0
	v_cndmask_b32_e32 v8, v13, v8, vcc
	v_and_b32_e32 v13, 7, v8
	v_cmp_lt_i32_e32 vcc, 5, v13
	v_cmp_eq_u32_e64 s[0:1], 3, v13
	v_lshrrev_b32_e32 v8, 2, v8
	s_or_b64 vcc, s[0:1], vcc
	v_addc_co_u32_e32 v8, vcc, 0, v8, vcc
	v_cmp_gt_i32_e32 vcc, 31, v12
	s_nop 1
	v_cndmask_b32_e32 v8, v2, v8, vcc
	v_cmp_ne_u32_e32 vcc, 0, v3
	s_nop 1
	v_cndmask_b32_e64 v3, 0, 1, vcc
	v_lshl_or_b32 v3, v3, 9, v2
	v_cmp_eq_u32_e32 vcc, s8, v12
	s_nop 1
	v_cndmask_b32_e32 v3, v8, v3, vcc
	v_cvt_f64_f32_e32 v[8:9], v4
	v_mul_f64 v[8:9], v[8:9], s[2:3]
	v_and_or_b32 v4, v9, s6, v8
	v_cmp_ne_u32_e32 vcc, 0, v4
	v_lshrrev_b32_e32 v8, 8, v9
	v_bfe_u32 v12, v9, 20, 11
	v_cndmask_b32_e64 v4, 0, 1, vcc
	v_and_or_b32 v4, v8, s7, v4
	v_sub_u32_e32 v13, 0x3f1, v12
	v_or_b32_e32 v8, 0x1000, v4
	v_med3_i32 v13, v13, 0, 13
	v_lshrrev_b32_e32 v14, v13, v8
	v_lshlrev_b32_e32 v13, v13, v14
	v_cmp_ne_u32_e32 vcc, v13, v8
	v_add_u32_e32 v12, 0xfffffc10, v12
	v_lshl_or_b32 v13, v12, 12, v4
	v_cndmask_b32_e64 v8, 0, 1, vcc
	v_or_b32_e32 v8, v14, v8
	v_cmp_gt_i32_e32 vcc, 1, v12
	v_bitop3_b32 v3, v10, s10, v3 bitop3:0xc8
	s_nop 0
	v_cndmask_b32_e32 v8, v13, v8, vcc
	v_and_b32_e32 v13, 7, v8
	v_cmp_lt_i32_e32 vcc, 5, v13
	v_cmp_eq_u32_e64 s[0:1], 3, v13
	v_lshrrev_b32_e32 v8, 2, v8
	s_or_b64 vcc, s[0:1], vcc
	v_addc_co_u32_e32 v8, vcc, 0, v8, vcc
	v_cmp_gt_i32_e32 vcc, 31, v12
	v_mad_u64_u32 v[6:7], s[0:1], s4, 48, v[6:7]
	s_nop 0
	v_cndmask_b32_e32 v8, v2, v8, vcc
	v_cmp_ne_u32_e32 vcc, 0, v4
	v_add_u32_e32 v7, s11, v7
	s_nop 0
	v_cndmask_b32_e64 v4, 0, 1, vcc
	v_lshl_or_b32 v4, v4, 9, v2
	v_cmp_eq_u32_e32 vcc, s8, v12
	s_nop 1
	v_cndmask_b32_e32 v4, v8, v4, vcc
	v_lshrrev_b32_e32 v8, 16, v9
	v_and_or_b32 v4, v8, s9, v4
	v_lshl_or_b32 v3, v4, 16, v3
	v_lshrrev_b32_e32 v4, 16, v5
	v_mul_f16_sdwa v8, v30, v4 dst_sel:DWORD dst_unused:UNUSED_PAD src0_sel:WORD_1 src1_sel:DWORD
	v_fma_f16 v8, v30, v5, v8
	v_cvt_f32_f16_e32 v8, v8
	global_store_dword v[6:7], v3, off
	v_mul_f16_sdwa v5, v30, v5 dst_sel:DWORD dst_unused:UNUSED_PAD src0_sel:WORD_1 src1_sel:DWORD
	v_fma_f16 v4, v30, v4, -v5
	v_cvt_f64_f32_e32 v[8:9], v8
	v_mul_f64 v[8:9], v[8:9], s[2:3]
	v_and_or_b32 v3, v9, s6, v8
	v_cmp_ne_u32_e32 vcc, 0, v3
	v_lshrrev_b32_e32 v8, 8, v9
	v_bfe_u32 v10, v9, 20, 11
	v_cndmask_b32_e64 v3, 0, 1, vcc
	v_and_or_b32 v3, v8, s7, v3
	v_sub_u32_e32 v12, 0x3f1, v10
	v_or_b32_e32 v8, 0x1000, v3
	v_med3_i32 v12, v12, 0, 13
	v_lshrrev_b32_e32 v13, v12, v8
	v_lshlrev_b32_e32 v12, v12, v13
	v_cmp_ne_u32_e32 vcc, v12, v8
	v_add_u32_e32 v10, 0xfffffc10, v10
	v_lshl_or_b32 v12, v10, 12, v3
	v_cndmask_b32_e64 v8, 0, 1, vcc
	v_or_b32_e32 v8, v13, v8
	v_cmp_gt_i32_e32 vcc, 1, v10
	v_cvt_f32_f16_e32 v4, v4
	v_cvt_f64_f32_e32 v[4:5], v4
	v_cndmask_b32_e32 v8, v12, v8, vcc
	v_and_b32_e32 v12, 7, v8
	v_cmp_lt_i32_e32 vcc, 5, v12
	v_cmp_eq_u32_e64 s[0:1], 3, v12
	v_lshrrev_b32_e32 v8, 2, v8
	s_or_b64 vcc, s[0:1], vcc
	v_addc_co_u32_e32 v8, vcc, 0, v8, vcc
	v_cmp_gt_i32_e32 vcc, 31, v10
	v_mul_f64 v[4:5], v[4:5], s[2:3]
	v_and_or_b32 v4, v5, s6, v4
	v_cndmask_b32_e32 v8, v2, v8, vcc
	v_cmp_ne_u32_e32 vcc, 0, v3
	s_nop 1
	v_cndmask_b32_e64 v3, 0, 1, vcc
	v_lshl_or_b32 v3, v3, 9, v2
	v_cmp_eq_u32_e32 vcc, s8, v10
	v_and_b32_sdwa v10, v9, s9 dst_sel:DWORD dst_unused:UNUSED_PAD src0_sel:WORD_1 src1_sel:DWORD
	v_bfe_u32 v9, v5, 20, 11
	v_cndmask_b32_e32 v3, v8, v3, vcc
	v_cmp_ne_u32_e32 vcc, 0, v4
	v_lshrrev_b32_e32 v8, 8, v5
	v_sub_u32_e32 v12, 0x3f1, v9
	v_cndmask_b32_e64 v4, 0, 1, vcc
	v_and_or_b32 v4, v8, s7, v4
	v_or_b32_e32 v8, 0x1000, v4
	v_med3_i32 v12, v12, 0, 13
	v_lshrrev_b32_e32 v13, v12, v8
	v_lshlrev_b32_e32 v12, v12, v13
	v_cmp_ne_u32_e32 vcc, v12, v8
	v_add_u32_e32 v9, 0xfffffc10, v9
	v_lshl_or_b32 v12, v9, 12, v4
	v_cndmask_b32_e64 v8, 0, 1, vcc
	v_or_b32_e32 v8, v13, v8
	v_cmp_gt_i32_e32 vcc, 1, v9
	v_lshrrev_b32_e32 v5, 16, v5
	v_bitop3_b32 v3, v10, s10, v3 bitop3:0xc8
	v_cndmask_b32_e32 v8, v12, v8, vcc
	v_and_b32_e32 v12, 7, v8
	v_cmp_lt_i32_e32 vcc, 5, v12
	v_cmp_eq_u32_e64 s[0:1], 3, v12
	v_lshrrev_b32_e32 v8, 2, v8
	s_or_b64 vcc, s[0:1], vcc
	v_addc_co_u32_e32 v8, vcc, 0, v8, vcc
	v_cmp_gt_i32_e32 vcc, 31, v9
	ds_read2_b32 v[12:13], v31 offset0:60 offset1:72
	s_nop 0
	v_cndmask_b32_e32 v8, v2, v8, vcc
	v_cmp_ne_u32_e32 vcc, 0, v4
	s_nop 1
	v_cndmask_b32_e64 v4, 0, 1, vcc
	v_lshl_or_b32 v4, v4, 9, v2
	v_cmp_eq_u32_e32 vcc, s8, v9
	s_nop 1
	v_cndmask_b32_e32 v4, v8, v4, vcc
	v_and_or_b32 v14, v5, s9, v4
	v_mad_u64_u32 v[4:5], s[0:1], s4, v29, 0
	v_mov_b32_e32 v8, v5
	v_mad_u64_u32 v[8:9], s[0:1], s5, v29, v[8:9]
	v_mov_b32_e32 v5, v8
	s_waitcnt lgkmcnt(0)
	v_lshrrev_b32_e32 v8, 16, v12
	v_mul_f16_sdwa v9, v28, v8 dst_sel:DWORD dst_unused:UNUSED_PAD src0_sel:WORD_1 src1_sel:DWORD
	v_fma_f16 v9, v28, v12, v9
	v_cvt_f32_f16_e32 v9, v9
	v_lshl_or_b32 v3, v14, 16, v3
	v_lshl_add_u64 v[0:1], v[4:5], 2, v[0:1]
	global_store_dword v[0:1], v3, off
	v_cvt_f64_f32_e32 v[0:1], v9
	v_mul_f64 v[0:1], v[0:1], s[2:3]
	v_and_or_b32 v0, v1, s6, v0
	v_cmp_ne_u32_e32 vcc, 0, v0
	v_lshrrev_b32_e32 v3, 8, v1
	v_bfe_u32 v4, v1, 20, 11
	v_cndmask_b32_e64 v0, 0, 1, vcc
	v_and_or_b32 v0, v3, s7, v0
	v_sub_u32_e32 v5, 0x3f1, v4
	v_or_b32_e32 v3, 0x1000, v0
	v_med3_i32 v5, v5, 0, 13
	v_lshrrev_b32_e32 v9, v5, v3
	v_lshlrev_b32_e32 v5, v5, v9
	v_cmp_ne_u32_e32 vcc, v5, v3
	v_add_u32_e32 v4, 0xfffffc10, v4
	v_lshl_or_b32 v5, v4, 12, v0
	v_cndmask_b32_e64 v3, 0, 1, vcc
	v_or_b32_e32 v3, v9, v3
	v_cmp_gt_i32_e32 vcc, 1, v4
	s_nop 1
	v_cndmask_b32_e32 v3, v5, v3, vcc
	v_and_b32_e32 v5, 7, v3
	v_cmp_lt_i32_e32 vcc, 5, v5
	v_cmp_eq_u32_e64 s[0:1], 3, v5
	v_lshrrev_b32_e32 v3, 2, v3
	s_or_b64 vcc, s[0:1], vcc
	v_mul_f16_sdwa v5, v28, v12 dst_sel:DWORD dst_unused:UNUSED_PAD src0_sel:WORD_1 src1_sel:DWORD
	v_addc_co_u32_e32 v3, vcc, 0, v3, vcc
	v_fma_f16 v5, v28, v8, -v5
	v_cmp_gt_i32_e32 vcc, 31, v4
	v_cvt_f32_f16_e32 v5, v5
	s_nop 0
	v_cndmask_b32_e32 v3, v2, v3, vcc
	v_cmp_ne_u32_e32 vcc, 0, v0
	s_nop 1
	v_cndmask_b32_e64 v0, 0, 1, vcc
	v_lshl_or_b32 v0, v0, 9, v2
	v_cmp_eq_u32_e32 vcc, s8, v4
	v_and_b32_sdwa v4, v1, s9 dst_sel:DWORD dst_unused:UNUSED_PAD src0_sel:WORD_1 src1_sel:DWORD
	s_nop 0
	v_cndmask_b32_e32 v3, v3, v0, vcc
	v_cvt_f64_f32_e32 v[0:1], v5
	v_mul_f64 v[0:1], v[0:1], s[2:3]
	v_and_or_b32 v0, v1, s6, v0
	v_cmp_ne_u32_e32 vcc, 0, v0
	v_lshrrev_b32_e32 v5, 8, v1
	v_bfe_u32 v8, v1, 20, 11
	v_cndmask_b32_e64 v0, 0, 1, vcc
	v_and_or_b32 v0, v5, s7, v0
	v_sub_u32_e32 v9, 0x3f1, v8
	v_or_b32_e32 v5, 0x1000, v0
	v_med3_i32 v9, v9, 0, 13
	v_lshrrev_b32_e32 v10, v9, v5
	v_lshlrev_b32_e32 v9, v9, v10
	v_cmp_ne_u32_e32 vcc, v9, v5
	v_add_u32_e32 v8, 0xfffffc10, v8
	v_lshl_or_b32 v9, v8, 12, v0
	v_cndmask_b32_e64 v5, 0, 1, vcc
	v_or_b32_e32 v5, v10, v5
	v_cmp_gt_i32_e32 vcc, 1, v8
	v_lshrrev_b32_e32 v1, 16, v1
	s_nop 0
	v_cndmask_b32_e32 v5, v9, v5, vcc
	v_and_b32_e32 v9, 7, v5
	v_cmp_lt_i32_e32 vcc, 5, v9
	v_cmp_eq_u32_e64 s[0:1], 3, v9
	v_lshrrev_b32_e32 v5, 2, v5
	s_or_b64 vcc, s[0:1], vcc
	v_addc_co_u32_e32 v5, vcc, 0, v5, vcc
	v_cmp_gt_i32_e32 vcc, 31, v8
	s_nop 1
	v_cndmask_b32_e32 v5, v2, v5, vcc
	v_cmp_ne_u32_e32 vcc, 0, v0
	s_nop 1
	v_cndmask_b32_e64 v0, 0, 1, vcc
	v_lshl_or_b32 v0, v0, 9, v2
	v_cmp_eq_u32_e32 vcc, s8, v8
	s_nop 1
	v_cndmask_b32_e32 v0, v5, v0, vcc
	v_and_or_b32 v0, v1, s9, v0
	v_bitop3_b32 v1, v4, s10, v3 bitop3:0xc8
	v_lshl_or_b32 v3, v0, 16, v1
	v_mov_b32_e32 v0, 0x60
	v_mad_u64_u32 v[0:1], s[0:1], s4, v0, v[6:7]
	v_lshrrev_b32_e32 v6, 16, v13
	v_mul_f16_sdwa v4, v11, v6 dst_sel:DWORD dst_unused:UNUSED_PAD src0_sel:WORD_1 src1_sel:DWORD
	v_fma_f16 v4, v11, v13, v4
	v_cvt_f32_f16_e32 v4, v4
	s_mul_i32 s0, s5, 0x60
	v_add_u32_e32 v1, s0, v1
	global_store_dword v[0:1], v3, off
	v_cvt_f64_f32_e32 v[4:5], v4
	v_mul_f64 v[4:5], v[4:5], s[2:3]
	v_and_or_b32 v3, v5, s6, v4
	v_cmp_ne_u32_e32 vcc, 0, v3
	v_lshrrev_b32_e32 v4, 8, v5
	v_bfe_u32 v7, v5, 20, 11
	v_cndmask_b32_e64 v3, 0, 1, vcc
	v_and_or_b32 v3, v4, s7, v3
	v_sub_u32_e32 v8, 0x3f1, v7
	v_or_b32_e32 v4, 0x1000, v3
	v_med3_i32 v8, v8, 0, 13
	v_lshrrev_b32_e32 v9, v8, v4
	v_lshlrev_b32_e32 v8, v8, v9
	v_cmp_ne_u32_e32 vcc, v8, v4
	v_add_u32_e32 v7, 0xfffffc10, v7
	v_lshl_or_b32 v8, v7, 12, v3
	v_cndmask_b32_e64 v4, 0, 1, vcc
	v_or_b32_e32 v4, v9, v4
	v_cmp_gt_i32_e32 vcc, 1, v7
	s_nop 1
	v_cndmask_b32_e32 v4, v8, v4, vcc
	v_and_b32_e32 v8, 7, v4
	v_cmp_lt_i32_e32 vcc, 5, v8
	v_cmp_eq_u32_e64 s[0:1], 3, v8
	v_lshrrev_b32_e32 v4, 2, v4
	s_or_b64 vcc, s[0:1], vcc
	v_mul_f16_sdwa v8, v11, v13 dst_sel:DWORD dst_unused:UNUSED_PAD src0_sel:WORD_1 src1_sel:DWORD
	v_addc_co_u32_e32 v4, vcc, 0, v4, vcc
	v_fma_f16 v6, v11, v6, -v8
	v_cmp_gt_i32_e32 vcc, 31, v7
	v_cvt_f32_f16_e32 v6, v6
	s_nop 0
	v_cndmask_b32_e32 v4, v2, v4, vcc
	v_cmp_ne_u32_e32 vcc, 0, v3
	s_nop 1
	v_cndmask_b32_e64 v3, 0, 1, vcc
	v_lshl_or_b32 v3, v3, 9, v2
	v_cmp_eq_u32_e32 vcc, s8, v7
	v_and_b32_sdwa v7, v5, s9 dst_sel:DWORD dst_unused:UNUSED_PAD src0_sel:WORD_1 src1_sel:DWORD
	s_nop 0
	v_cndmask_b32_e32 v3, v4, v3, vcc
	v_cvt_f64_f32_e32 v[4:5], v6
	v_mul_f64 v[4:5], v[4:5], s[2:3]
	v_and_or_b32 v4, v5, s6, v4
	v_cmp_ne_u32_e32 vcc, 0, v4
	v_lshrrev_b32_e32 v6, 8, v5
	v_bfe_u32 v8, v5, 20, 11
	v_cndmask_b32_e64 v4, 0, 1, vcc
	v_and_or_b32 v4, v6, s7, v4
	v_sub_u32_e32 v9, 0x3f1, v8
	v_or_b32_e32 v6, 0x1000, v4
	v_med3_i32 v9, v9, 0, 13
	v_lshrrev_b32_e32 v10, v9, v6
	v_lshlrev_b32_e32 v9, v9, v10
	v_cmp_ne_u32_e32 vcc, v9, v6
	v_add_u32_e32 v8, 0xfffffc10, v8
	v_lshl_or_b32 v9, v8, 12, v4
	v_cndmask_b32_e64 v6, 0, 1, vcc
	v_or_b32_e32 v6, v10, v6
	v_cmp_gt_i32_e32 vcc, 1, v8
	v_bitop3_b32 v3, v7, s10, v3 bitop3:0xc8
	s_nop 0
	v_cndmask_b32_e32 v6, v9, v6, vcc
	v_and_b32_e32 v9, 7, v6
	v_cmp_lt_i32_e32 vcc, 5, v9
	v_cmp_eq_u32_e64 s[0:1], 3, v9
	v_lshrrev_b32_e32 v6, 2, v6
	s_or_b64 vcc, s[0:1], vcc
	v_addc_co_u32_e32 v6, vcc, 0, v6, vcc
	v_cmp_gt_i32_e32 vcc, 31, v8
	v_mad_u64_u32 v[0:1], s[0:1], s4, 48, v[0:1]
	s_nop 0
	v_cndmask_b32_e32 v6, v2, v6, vcc
	v_cmp_ne_u32_e32 vcc, 0, v4
	v_add_u32_e32 v1, s11, v1
	s_nop 0
	v_cndmask_b32_e64 v4, 0, 1, vcc
	v_lshl_or_b32 v2, v4, 9, v2
	v_cmp_eq_u32_e32 vcc, s8, v8
	v_lshrrev_b32_e32 v4, 16, v5
	s_nop 0
	v_cndmask_b32_e32 v2, v6, v2, vcc
	v_and_or_b32 v2, v4, s9, v2
	v_lshl_or_b32 v2, v2, 16, v3
	global_store_dword v[0:1], v2, off
.LBB0_18:
	s_endpgm
	.section	.rodata,"a",@progbits
	.p2align	6, 0x0
	.amdhsa_kernel bluestein_single_fwd_len84_dim1_half_op_CI_CI
		.amdhsa_group_segment_fixed_size 3360
		.amdhsa_private_segment_fixed_size 0
		.amdhsa_kernarg_size 104
		.amdhsa_user_sgpr_count 2
		.amdhsa_user_sgpr_dispatch_ptr 0
		.amdhsa_user_sgpr_queue_ptr 0
		.amdhsa_user_sgpr_kernarg_segment_ptr 1
		.amdhsa_user_sgpr_dispatch_id 0
		.amdhsa_user_sgpr_kernarg_preload_length 0
		.amdhsa_user_sgpr_kernarg_preload_offset 0
		.amdhsa_user_sgpr_private_segment_size 0
		.amdhsa_uses_dynamic_stack 0
		.amdhsa_enable_private_segment 0
		.amdhsa_system_sgpr_workgroup_id_x 1
		.amdhsa_system_sgpr_workgroup_id_y 0
		.amdhsa_system_sgpr_workgroup_id_z 0
		.amdhsa_system_sgpr_workgroup_info 0
		.amdhsa_system_vgpr_workitem_id 0
		.amdhsa_next_free_vgpr 75
		.amdhsa_next_free_sgpr 20
		.amdhsa_accum_offset 76
		.amdhsa_reserve_vcc 1
		.amdhsa_float_round_mode_32 0
		.amdhsa_float_round_mode_16_64 0
		.amdhsa_float_denorm_mode_32 3
		.amdhsa_float_denorm_mode_16_64 3
		.amdhsa_dx10_clamp 1
		.amdhsa_ieee_mode 1
		.amdhsa_fp16_overflow 0
		.amdhsa_tg_split 0
		.amdhsa_exception_fp_ieee_invalid_op 0
		.amdhsa_exception_fp_denorm_src 0
		.amdhsa_exception_fp_ieee_div_zero 0
		.amdhsa_exception_fp_ieee_overflow 0
		.amdhsa_exception_fp_ieee_underflow 0
		.amdhsa_exception_fp_ieee_inexact 0
		.amdhsa_exception_int_div_zero 0
	.end_amdhsa_kernel
	.text
.Lfunc_end0:
	.size	bluestein_single_fwd_len84_dim1_half_op_CI_CI, .Lfunc_end0-bluestein_single_fwd_len84_dim1_half_op_CI_CI
                                        ; -- End function
	.section	.AMDGPU.csdata,"",@progbits
; Kernel info:
; codeLenInByte = 9940
; NumSgprs: 26
; NumVgprs: 75
; NumAgprs: 0
; TotalNumVgprs: 75
; ScratchSize: 0
; MemoryBound: 0
; FloatMode: 240
; IeeeMode: 1
; LDSByteSize: 3360 bytes/workgroup (compile time only)
; SGPRBlocks: 3
; VGPRBlocks: 9
; NumSGPRsForWavesPerEU: 26
; NumVGPRsForWavesPerEU: 75
; AccumOffset: 76
; Occupancy: 6
; WaveLimiterHint : 1
; COMPUTE_PGM_RSRC2:SCRATCH_EN: 0
; COMPUTE_PGM_RSRC2:USER_SGPR: 2
; COMPUTE_PGM_RSRC2:TRAP_HANDLER: 0
; COMPUTE_PGM_RSRC2:TGID_X_EN: 1
; COMPUTE_PGM_RSRC2:TGID_Y_EN: 0
; COMPUTE_PGM_RSRC2:TGID_Z_EN: 0
; COMPUTE_PGM_RSRC2:TIDIG_COMP_CNT: 0
; COMPUTE_PGM_RSRC3_GFX90A:ACCUM_OFFSET: 18
; COMPUTE_PGM_RSRC3_GFX90A:TG_SPLIT: 0
	.text
	.p2alignl 6, 3212836864
	.fill 256, 4, 3212836864
	.type	__hip_cuid_11531f48ba1a1b18,@object ; @__hip_cuid_11531f48ba1a1b18
	.section	.bss,"aw",@nobits
	.globl	__hip_cuid_11531f48ba1a1b18
__hip_cuid_11531f48ba1a1b18:
	.byte	0                               ; 0x0
	.size	__hip_cuid_11531f48ba1a1b18, 1

	.ident	"AMD clang version 19.0.0git (https://github.com/RadeonOpenCompute/llvm-project roc-6.4.0 25133 c7fe45cf4b819c5991fe208aaa96edf142730f1d)"
	.section	".note.GNU-stack","",@progbits
	.addrsig
	.addrsig_sym __hip_cuid_11531f48ba1a1b18
	.amdgpu_metadata
---
amdhsa.kernels:
  - .agpr_count:     0
    .args:
      - .actual_access:  read_only
        .address_space:  global
        .offset:         0
        .size:           8
        .value_kind:     global_buffer
      - .actual_access:  read_only
        .address_space:  global
        .offset:         8
        .size:           8
        .value_kind:     global_buffer
      - .actual_access:  read_only
        .address_space:  global
        .offset:         16
        .size:           8
        .value_kind:     global_buffer
      - .actual_access:  read_only
        .address_space:  global
        .offset:         24
        .size:           8
        .value_kind:     global_buffer
      - .actual_access:  read_only
        .address_space:  global
        .offset:         32
        .size:           8
        .value_kind:     global_buffer
      - .offset:         40
        .size:           8
        .value_kind:     by_value
      - .address_space:  global
        .offset:         48
        .size:           8
        .value_kind:     global_buffer
      - .address_space:  global
        .offset:         56
        .size:           8
        .value_kind:     global_buffer
      - .address_space:  global
        .offset:         64
        .size:           8
        .value_kind:     global_buffer
      - .address_space:  global
        .offset:         72
        .size:           8
        .value_kind:     global_buffer
      - .offset:         80
        .size:           4
        .value_kind:     by_value
      - .address_space:  global
        .offset:         88
        .size:           8
        .value_kind:     global_buffer
      - .address_space:  global
        .offset:         96
        .size:           8
        .value_kind:     global_buffer
    .group_segment_fixed_size: 3360
    .kernarg_segment_align: 8
    .kernarg_segment_size: 104
    .language:       OpenCL C
    .language_version:
      - 2
      - 0
    .max_flat_workgroup_size: 120
    .name:           bluestein_single_fwd_len84_dim1_half_op_CI_CI
    .private_segment_fixed_size: 0
    .sgpr_count:     26
    .sgpr_spill_count: 0
    .symbol:         bluestein_single_fwd_len84_dim1_half_op_CI_CI.kd
    .uniform_work_group_size: 1
    .uses_dynamic_stack: false
    .vgpr_count:     75
    .vgpr_spill_count: 0
    .wavefront_size: 64
amdhsa.target:   amdgcn-amd-amdhsa--gfx950
amdhsa.version:
  - 1
  - 2
...

	.end_amdgpu_metadata
